;; amdgpu-corpus repo=ROCm/rocFFT kind=compiled arch=gfx950 opt=O3
	.text
	.amdgcn_target "amdgcn-amd-amdhsa--gfx950"
	.amdhsa_code_object_version 6
	.protected	bluestein_single_back_len1625_dim1_sp_op_CI_CI ; -- Begin function bluestein_single_back_len1625_dim1_sp_op_CI_CI
	.globl	bluestein_single_back_len1625_dim1_sp_op_CI_CI
	.p2align	8
	.type	bluestein_single_back_len1625_dim1_sp_op_CI_CI,@function
bluestein_single_back_len1625_dim1_sp_op_CI_CI: ; @bluestein_single_back_len1625_dim1_sp_op_CI_CI
; %bb.0:
	s_load_dwordx4 s[12:15], s[0:1], 0x28
	v_mul_u32_u24_e32 v1, 0x3f1, v0
	v_lshrrev_b32_e32 v6, 16, v1
	v_mov_b32_e32 v227, 0
	v_lshl_add_u32 v8, s2, 1, v6
	v_mov_b32_e32 v9, v227
	s_waitcnt lgkmcnt(0)
	v_cmp_gt_u64_e32 vcc, s[12:13], v[8:9]
	s_and_saveexec_b64 s[2:3], vcc
	s_cbranch_execz .LBB0_15
; %bb.1:
	s_load_dwordx4 s[4:7], s[0:1], 0x18
	s_load_dwordx2 s[12:13], s[0:1], 0x0
	v_mul_lo_u16_e32 v1, 0x41, v6
	v_sub_u16_e32 v226, v0, v1
	v_accvgpr_write_b32 a22, v8
	s_waitcnt lgkmcnt(0)
	s_load_dwordx4 s[8:11], s[4:5], 0x0
	v_mov_b32_e32 v2, s14
	v_mov_b32_e32 v3, s15
	v_and_b32_e32 v6, 1, v6
	v_mov_b32_e32 v7, 0x659
	s_waitcnt lgkmcnt(0)
	v_mad_u64_u32 v[0:1], s[2:3], s10, v8, 0
	v_mov_b32_e32 v4, v1
	v_mad_u64_u32 v[4:5], s[2:3], s11, v8, v[4:5]
	v_mov_b32_e32 v1, v4
	;; [unrolled: 2-line block ×3, first 2 shown]
	v_mad_u64_u32 v[8:9], s[2:3], s9, v226, v[8:9]
	s_mul_i32 s2, s9, 0x7d
	s_mul_hi_u32 s3, s8, 0x7d
	v_mov_b32_e32 v5, v8
	v_lshl_add_u64 v[0:1], v[0:1], 3, v[2:3]
	s_add_i32 s3, s3, s2
	s_mul_i32 s2, s8, 0x7d
	v_lshl_add_u64 v[0:1], v[4:5], 3, v[0:1]
	s_lshl_b64 s[14:15], s[2:3], 3
	v_lshlrev_b32_e32 v8, 3, v226
	global_load_dwordx2 v[10:11], v[0:1], off
	v_lshl_add_u64 v[0:1], v[0:1], 0, s[14:15]
	global_load_dwordx2 v[60:61], v8, s[12:13]
	global_load_dwordx2 v[12:13], v[0:1], off
	global_load_dwordx2 v[58:59], v8, s[12:13] offset:1000
	v_lshl_add_u64 v[0:1], v[0:1], 0, s[14:15]
	v_mov_b32_e32 v9, v227
	global_load_dwordx2 v[56:57], v8, s[12:13] offset:2000
	global_load_dwordx2 v[14:15], v[0:1], off
	v_lshl_add_u64 v[0:1], v[0:1], 0, s[14:15]
	v_lshl_add_u64 v[30:31], s[12:13], 0, v[8:9]
	global_load_dwordx2 v[16:17], v[0:1], off
	global_load_dwordx2 v[54:55], v8, s[12:13] offset:3000
	v_lshl_add_u64 v[0:1], v[0:1], 0, s[14:15]
	s_movk_i32 s2, 0x1000
	global_load_dwordx2 v[18:19], v[0:1], off
	global_load_dwordx2 v[50:51], v8, s[12:13] offset:4000
	v_lshl_add_u64 v[2:3], v[0:1], 0, s[14:15]
	v_add_co_u32_e32 v0, vcc, s2, v30
	global_load_dwordx2 v[20:21], v[2:3], off
	s_nop 0
	v_addc_co_u32_e32 v1, vcc, 0, v31, vcc
	global_load_dwordx2 v[52:53], v[0:1], off offset:904
	v_lshl_add_u64 v[2:3], v[2:3], 0, s[14:15]
	global_load_dwordx2 v[22:23], v[2:3], off
	global_load_dwordx2 v[46:47], v[0:1], off offset:1904
	v_lshl_add_u64 v[2:3], v[2:3], 0, s[14:15]
	global_load_dwordx2 v[24:25], v[2:3], off
	v_lshl_add_u64 v[2:3], v[2:3], 0, s[14:15]
	s_movk_i32 s2, 0x2000
	global_load_dwordx2 v[48:49], v[0:1], off offset:2904
	global_load_dwordx2 v[26:27], v[2:3], off
	global_load_dwordx2 v[42:43], v[0:1], off offset:3904
	v_lshl_add_u64 v[4:5], v[2:3], 0, s[14:15]
	v_add_co_u32_e32 v2, vcc, s2, v30
	global_load_dwordx2 v[28:29], v[4:5], off
	s_nop 0
	v_addc_co_u32_e32 v3, vcc, 0, v31, vcc
	global_load_dwordx2 v[44:45], v[2:3], off offset:808
	v_accvgpr_write_b32 a0, v30
	v_lshl_add_u64 v[4:5], v[4:5], 0, s[14:15]
	v_accvgpr_write_b32 a1, v31
	global_load_dwordx2 v[30:31], v[4:5], off
	global_load_dwordx2 v[40:41], v[2:3], off offset:1808
	v_lshl_add_u64 v[4:5], v[4:5], 0, s[14:15]
	global_load_dwordx2 v[32:33], v[4:5], off
	global_load_dwordx2 v[38:39], v[2:3], off offset:2808
	v_lshl_add_u64 v[4:5], v[4:5], 0, s[14:15]
	global_load_dwordx2 v[36:37], v[2:3], off offset:3808
	global_load_dwordx2 v[34:35], v[4:5], off
	v_cmp_eq_u32_e32 vcc, 1, v6
	s_load_dwordx2 s[10:11], s[0:1], 0x38
	v_cmp_gt_u16_e64 s[2:3], 60, v226
	v_cndmask_b32_e32 v6, 0, v7, vcc
	v_lshlrev_b32_e32 v199, 3, v6
	v_add_u32_e32 v198, v199, v8
	s_load_dwordx4 s[4:7], s[6:7], 0x0
	s_waitcnt vmcnt(24)
	v_accvgpr_write_b32 a30, v60
	v_mul_f32_e32 v6, v11, v61
	v_mul_f32_e32 v7, v10, v61
	s_waitcnt vmcnt(22)
	v_mul_f32_e32 v8, v13, v59
	v_mul_f32_e32 v9, v12, v59
	v_fmac_f32_e32 v6, v10, v60
	v_fma_f32 v7, v11, v60, -v7
	v_fmac_f32_e32 v8, v12, v58
	v_fma_f32 v9, v13, v58, -v9
	s_waitcnt vmcnt(20)
	v_mul_f32_e32 v10, v15, v57
	v_mul_f32_e32 v11, v14, v57
	ds_write2_b64 v198, v[6:7], v[8:9] offset1:125
	s_waitcnt vmcnt(18)
	v_mul_f32_e32 v8, v17, v55
	v_mul_f32_e32 v6, v16, v55
	v_fmac_f32_e32 v10, v14, v56
	v_fma_f32 v11, v15, v56, -v11
	v_fmac_f32_e32 v8, v16, v54
	v_fma_f32 v9, v17, v54, -v6
	v_add_u32_e32 v6, 0x400, v198
	s_waitcnt vmcnt(16)
	v_mul_f32_e32 v7, v18, v51
	ds_write2_b64 v6, v[10:11], v[8:9] offset0:122 offset1:247
	v_mul_f32_e32 v8, v19, v51
	v_fma_f32 v9, v19, v50, -v7
	s_waitcnt vmcnt(14)
	v_mul_f32_e32 v10, v21, v53
	v_mul_f32_e32 v7, v20, v53
	v_fmac_f32_e32 v8, v18, v50
	v_fmac_f32_e32 v10, v20, v52
	v_fma_f32 v11, v21, v52, -v7
	v_add_u32_e32 v7, 0xc00, v198
	ds_write2_b64 v7, v[8:9], v[10:11] offset0:116 offset1:241
	s_waitcnt vmcnt(12)
	v_mul_f32_e32 v8, v22, v47
	v_mul_f32_e32 v10, v23, v47
	v_fma_f32 v11, v23, v46, -v8
	s_waitcnt vmcnt(10)
	v_mul_f32_e32 v12, v25, v49
	v_mul_f32_e32 v8, v24, v49
	v_fmac_f32_e32 v10, v22, v46
	v_fmac_f32_e32 v12, v24, v48
	v_fma_f32 v13, v25, v48, -v8
	v_add_u32_e32 v8, 0x1400, v198
	s_waitcnt vmcnt(8)
	v_mul_f32_e32 v9, v26, v43
	ds_write2_b64 v8, v[10:11], v[12:13] offset0:110 offset1:235
	v_mul_f32_e32 v10, v27, v43
	v_fma_f32 v11, v27, v42, -v9
	s_waitcnt vmcnt(6)
	v_mul_f32_e32 v12, v29, v45
	v_mul_f32_e32 v9, v28, v45
	v_fmac_f32_e32 v10, v26, v42
	v_fmac_f32_e32 v12, v28, v44
	v_fma_f32 v13, v29, v44, -v9
	v_add_u32_e32 v9, 0x1c00, v198
	ds_write2_b64 v9, v[10:11], v[12:13] offset0:104 offset1:229
	s_waitcnt vmcnt(4)
	v_mul_f32_e32 v10, v30, v41
	v_mul_f32_e32 v12, v31, v41
	v_fma_f32 v13, v31, v40, -v10
	s_waitcnt vmcnt(2)
	v_mul_f32_e32 v14, v33, v39
	v_mul_f32_e32 v10, v32, v39
	v_fmac_f32_e32 v12, v30, v40
	v_fmac_f32_e32 v14, v32, v38
	v_fma_f32 v15, v33, v38, -v10
	v_add_u32_e32 v10, 0x2400, v198
	v_accvgpr_write_b32 a28, v58
	v_accvgpr_write_b32 a26, v56
	;; [unrolled: 1-line block ×11, first 2 shown]
	ds_write2_b64 v10, v[12:13], v[14:15] offset0:98 offset1:223
	s_waitcnt vmcnt(0)
	v_mul_f32_e32 v12, v35, v37
	v_mul_f32_e32 v11, v34, v37
	v_accvgpr_write_b32 a2, v36
	v_accvgpr_write_b32 a31, v61
	;; [unrolled: 1-line block ×13, first 2 shown]
	v_fmac_f32_e32 v12, v34, v36
	v_accvgpr_write_b32 a3, v37
	v_fma_f32 v13, v35, v36, -v11
	ds_write_b64 v198, v[12:13] offset:12000
	s_and_saveexec_b64 s[16:17], s[2:3]
	s_cbranch_execz .LBB0_3
; %bb.2:
	v_mov_b32_e32 v11, 0xffffd328
	s_mulk_i32 s9, 0xd328
	v_mad_u64_u32 v[4:5], s[18:19], s8, v11, v[4:5]
	s_sub_i32 s8, s9, s8
	v_accvgpr_read_b32 v55, a1
	v_add_u32_e32 v5, s8, v5
	v_accvgpr_read_b32 v54, a0
	global_load_dwordx2 v[12:13], v[4:5], off
	global_load_dwordx2 v[14:15], v[54:55], off offset:520
	v_lshl_add_u64 v[4:5], v[4:5], 0, s[14:15]
	global_load_dwordx2 v[16:17], v[4:5], off
	global_load_dwordx2 v[18:19], v[54:55], off offset:1520
	v_lshl_add_u64 v[4:5], v[4:5], 0, s[14:15]
	global_load_dwordx2 v[20:21], v[4:5], off
	global_load_dwordx2 v[22:23], v[54:55], off offset:2520
	global_load_dwordx2 v[24:25], v[54:55], off offset:3520
	v_lshl_add_u64 v[4:5], v[4:5], 0, s[14:15]
	global_load_dwordx2 v[26:27], v[4:5], off
	v_lshl_add_u64 v[4:5], v[4:5], 0, s[14:15]
	global_load_dwordx2 v[28:29], v[4:5], off
	global_load_dwordx2 v[30:31], v[0:1], off offset:424
	v_lshl_add_u64 v[4:5], v[4:5], 0, s[14:15]
	global_load_dwordx2 v[32:33], v[4:5], off
	global_load_dwordx2 v[34:35], v[0:1], off offset:1424
	;; [unrolled: 3-line block ×3, first 2 shown]
	global_load_dwordx2 v[40:41], v[0:1], off offset:3424
	v_lshl_add_u64 v[0:1], v[4:5], 0, s[14:15]
	global_load_dwordx2 v[4:5], v[0:1], off
	v_lshl_add_u64 v[0:1], v[0:1], 0, s[14:15]
	global_load_dwordx2 v[42:43], v[0:1], off
	global_load_dwordx2 v[44:45], v[2:3], off offset:328
	v_lshl_add_u64 v[0:1], v[0:1], 0, s[14:15]
	global_load_dwordx2 v[46:47], v[0:1], off
	global_load_dwordx2 v[48:49], v[2:3], off offset:1328
	global_load_dwordx2 v[50:51], v[2:3], off offset:2328
	;; [unrolled: 1-line block ×3, first 2 shown]
	v_lshl_add_u64 v[0:1], v[0:1], 0, s[14:15]
	global_load_dwordx2 v[2:3], v[0:1], off
	v_lshl_add_u64 v[0:1], v[0:1], 0, s[14:15]
	v_add_co_u32_e32 v54, vcc, 0x3000, v54
	global_load_dwordx2 v[56:57], v[0:1], off
	s_nop 0
	v_addc_co_u32_e32 v55, vcc, 0, v55, vcc
	v_lshl_add_u64 v[0:1], v[0:1], 0, s[14:15]
	global_load_dwordx2 v[54:55], v[54:55], off offset:232
	v_add_u32_e32 v11, 0x800, v198
	global_load_dwordx2 v[0:1], v[0:1], off
	v_add_u32_e32 v60, 0x1000, v198
	v_add_u32_e32 v61, 0x1800, v198
	s_waitcnt vmcnt(24)
	v_mul_f32_e32 v58, v13, v15
	v_mul_f32_e32 v15, v12, v15
	v_fmac_f32_e32 v58, v12, v14
	v_fma_f32 v59, v13, v14, -v15
	s_waitcnt vmcnt(22)
	v_mul_f32_e32 v12, v17, v19
	v_mul_f32_e32 v13, v16, v19
	v_fmac_f32_e32 v12, v16, v18
	v_fma_f32 v13, v17, v18, -v13
	s_waitcnt vmcnt(20)
	v_mul_f32_e32 v14, v21, v23
	v_mul_f32_e32 v15, v20, v23
	ds_write2_b64 v198, v[58:59], v[12:13] offset0:65 offset1:190
	s_waitcnt vmcnt(18)
	v_mul_f32_e32 v12, v27, v25
	v_mul_f32_e32 v13, v26, v25
	v_fmac_f32_e32 v14, v20, v22
	v_fma_f32 v15, v21, v22, -v15
	v_fmac_f32_e32 v12, v26, v24
	v_fma_f32 v13, v27, v24, -v13
	s_waitcnt vmcnt(16)
	v_mul_f32_e32 v16, v29, v31
	v_mul_f32_e32 v17, v28, v31
	ds_write2_b64 v11, v[14:15], v[12:13] offset0:59 offset1:184
	s_waitcnt vmcnt(14)
	v_mul_f32_e32 v12, v33, v35
	v_mul_f32_e32 v11, v32, v35
	v_fmac_f32_e32 v16, v28, v30
	v_fma_f32 v17, v29, v30, -v17
	v_fmac_f32_e32 v12, v32, v34
	v_fma_f32 v13, v33, v34, -v11
	s_waitcnt vmcnt(12)
	v_mul_f32_e32 v11, v36, v39
	v_mul_f32_e32 v14, v37, v39
	ds_write2_b64 v60, v[16:17], v[12:13] offset0:53 offset1:178
	v_fma_f32 v15, v37, v38, -v11
	s_waitcnt vmcnt(10)
	v_mul_f32_e32 v12, v5, v41
	v_mul_f32_e32 v11, v4, v41
	v_fmac_f32_e32 v14, v36, v38
	v_fmac_f32_e32 v12, v4, v40
	v_fma_f32 v13, v5, v40, -v11
	s_waitcnt vmcnt(8)
	v_mul_f32_e32 v4, v43, v45
	v_mul_f32_e32 v5, v42, v45
	ds_write2_b64 v61, v[14:15], v[12:13] offset0:47 offset1:172
	s_waitcnt vmcnt(6)
	v_mul_f32_e32 v12, v47, v49
	v_mul_f32_e32 v11, v46, v49
	v_fmac_f32_e32 v4, v42, v44
	v_fma_f32 v5, v43, v44, -v5
	v_fmac_f32_e32 v12, v46, v48
	v_fma_f32 v13, v47, v48, -v11
	v_add_u32_e32 v11, 0x2000, v198
	ds_write2_b64 v11, v[4:5], v[12:13] offset0:41 offset1:166
	s_waitcnt vmcnt(3)
	v_mul_f32_e32 v4, v3, v51
	v_fmac_f32_e32 v4, v2, v50
	v_mul_f32_e32 v2, v2, v51
	v_fma_f32 v5, v3, v50, -v2
	s_waitcnt vmcnt(2)
	v_mul_f32_e32 v2, v57, v53
	v_mul_f32_e32 v3, v56, v53
	v_fmac_f32_e32 v2, v56, v52
	v_fma_f32 v3, v57, v52, -v3
	v_add_u32_e32 v11, 0x2800, v198
	ds_write2_b64 v11, v[4:5], v[2:3] offset0:35 offset1:160
	s_waitcnt vmcnt(0)
	v_mul_f32_e32 v2, v1, v55
	v_fmac_f32_e32 v2, v0, v54
	v_mul_f32_e32 v0, v0, v55
	v_fma_f32 v3, v1, v54, -v0
	ds_write_b64 v198, v[2:3] offset:12520
.LBB0_3:
	s_or_b64 exec, exec, s[16:17]
	s_waitcnt lgkmcnt(0)
	s_barrier
	ds_read2_b64 v[24:27], v198 offset1:125
	ds_read2_b64 v[44:47], v6 offset0:122 offset1:247
	ds_read2_b64 v[40:43], v7 offset0:116 offset1:241
	;; [unrolled: 1-line block ×5, first 2 shown]
	ds_read_b64 v[60:61], v198 offset:12000
	s_load_dwordx2 s[0:1], s[0:1], 0x8
	v_mov_b64_e32 v[0:1], 0
                                        ; implicit-def: $vgpr6
                                        ; implicit-def: $vgpr12
                                        ; implicit-def: $vgpr10
                                        ; implicit-def: $vgpr20
                                        ; implicit-def: $vgpr18
                                        ; implicit-def: $vgpr56
	s_and_saveexec_b64 s[8:9], s[2:3]
	s_cbranch_execz .LBB0_5
; %bb.4:
	v_add_u32_e32 v4, 0x800, v198
	ds_read2_b64 v[16:19], v4 offset0:59 offset1:184
	v_add_u32_e32 v4, 0x1000, v198
	ds_read2_b64 v[8:11], v4 offset0:53 offset1:178
	v_add_u32_e32 v4, 0x1800, v198
	v_add_u32_e32 v12, 0x2000, v198
	;; [unrolled: 1-line block ×3, first 2 shown]
	ds_read2_b64 v[0:3], v198 offset0:65 offset1:190
	ds_read2_b64 v[4:7], v4 offset0:47 offset1:172
	;; [unrolled: 1-line block ×4, first 2 shown]
	ds_read_b64 v[56:57], v198 offset:12520
.LBB0_5:
	s_or_b64 exec, exec, s[8:9]
	s_waitcnt lgkmcnt(0)
	v_pk_add_f32 v[58:59], v[24:25], v[26:27]
	v_pk_add_f32 v[120:121], v[30:31], v[44:45]
	v_pk_add_f32 v[64:65], v[44:45], v[30:31] neg_lo:[0,1] neg_hi:[0,1]
	v_pk_add_f32 v[44:45], v[58:59], v[44:45]
	v_pk_add_f32 v[116:117], v[28:29], v[46:47]
	v_pk_add_f32 v[66:67], v[46:47], v[28:29] neg_lo:[0,1] neg_hi:[0,1]
	;; [unrolled: 3-line block ×3, first 2 shown]
	v_pk_add_f32 v[40:41], v[46:47], v[40:41]
	v_pk_add_f32 v[108:109], v[38:39], v[36:37]
	;; [unrolled: 1-line block ×3, first 2 shown]
	v_pk_add_f32 v[92:93], v[36:37], v[38:39] neg_lo:[0,1] neg_hi:[0,1]
	v_pk_add_f32 v[36:37], v[46:47], v[36:37]
	v_pk_add_f32 v[110:111], v[32:33], v[42:43]
	;; [unrolled: 1-line block ×3, first 2 shown]
	v_pk_add_f32 v[72:73], v[42:43], v[32:33] neg_lo:[0,1] neg_hi:[0,1]
	v_pk_add_f32 v[54:55], v[2:3], v[56:57] neg_lo:[0,1] neg_hi:[0,1]
	s_mov_b32 s44, 0xbeedf032
	v_pk_add_f32 v[32:33], v[36:37], v[32:33]
	v_pk_add_f32 v[122:123], v[60:61], v[26:27]
	v_pk_add_f32 v[62:63], v[26:27], v[60:61] neg_lo:[0,1] neg_hi:[0,1]
	v_pk_add_f32 v[52:53], v[56:57], v[2:3]
	v_pk_add_f32 v[50:51], v[16:17], v[22:23] neg_lo:[0,1] neg_hi:[0,1]
	s_mov_b32 s16, 0x3f62ad3f
	v_pk_mul_f32 v[58:59], v[54:55], s[44:45] op_sel_hi:[1,0]
	s_mov_b32 s18, 0xbf52af12
	v_pk_add_f32 v[32:33], v[32:33], v[34:35]
	v_pk_add_f32 v[48:49], v[22:23], v[16:17]
	v_pk_fma_f32 v[40:41], v[52:53], s[16:17], v[58:59] op_sel:[0,0,1] op_sel_hi:[1,0,0]
	v_pk_fma_f32 v[42:43], v[52:53], s[16:17], v[58:59] op_sel:[0,0,1] op_sel_hi:[1,0,0] neg_lo:[0,0,1] neg_hi:[0,0,1]
	s_mov_b32 s14, 0x3f116cb1
	v_pk_mul_f32 v[58:59], v[50:51], s[18:19] op_sel_hi:[1,0]
	v_pk_add_f32 v[28:29], v[32:33], v[28:29]
	v_mov_b32_e32 v79, v123
	v_mov_b32_e32 v123, v62
	s_mov_b32 s17, s44
	v_pk_fma_f32 v[46:47], v[48:49], s[14:15], v[58:59] op_sel:[0,0,1] op_sel_hi:[1,0,0]
	v_pk_fma_f32 v[58:59], v[48:49], s[14:15], v[58:59] op_sel:[0,0,1] op_sel_hi:[1,0,0] neg_lo:[0,0,1] neg_hi:[0,0,1]
	v_pk_add_f32 v[28:29], v[28:29], v[30:31]
	v_mov_b32_e32 v78, v63
	s_mov_b32 s45, s16
	v_pk_mul_f32 v[84:85], v[122:123], s[16:17]
	v_mov_b32_e32 v69, v121
	v_mov_b32_e32 v121, v64
	s_mov_b32 s15, s18
	v_pk_add_f32 v[124:125], v[28:29], v[60:61]
	v_pk_fma_f32 v[28:29], v[78:79], s[44:45], v[84:85] neg_lo:[1,0,0] neg_hi:[1,0,0]
	v_pk_fma_f32 v[82:83], v[78:79], s[44:45], v[84:85]
	v_mov_b32_e32 v68, v65
	s_mov_b32 s19, s14
	v_pk_mul_f32 v[76:77], v[120:121], s[14:15]
	v_mov_b32_e32 v29, v83
	v_pk_fma_f32 v[30:31], v[68:69], s[18:19], v[76:77] neg_lo:[1,0,0] neg_hi:[1,0,0]
	v_pk_fma_f32 v[74:75], v[68:69], s[18:19], v[76:77]
	v_pk_add_f32 v[44:45], v[18:19], v[20:21] neg_lo:[0,1] neg_hi:[0,1]
	s_mov_b32 s24, 0xbf7e222b
	v_pk_add_f32 v[28:29], v[24:25], v[28:29]
	v_mov_b32_e32 v31, v75
	v_pk_add_f32 v[26:27], v[20:21], v[18:19]
	s_mov_b32 s8, 0x3df6dbef
	v_pk_add_f32 v[28:29], v[30:31], v[28:29]
	v_pk_mul_f32 v[30:31], v[44:45], s[24:25] op_sel_hi:[1,0]
	v_mov_b32_e32 v81, v117
	v_mov_b32_e32 v117, v66
	v_pk_fma_f32 v[60:61], v[26:27], s[8:9], v[30:31] op_sel:[0,0,1] op_sel_hi:[1,0,0]
	v_pk_fma_f32 v[62:63], v[26:27], s[8:9], v[30:31] op_sel:[0,0,1] op_sel_hi:[1,0,0] neg_lo:[0,0,1] neg_hi:[0,0,1]
	s_mov_b32 s9, s24
	v_mov_b32_e32 v80, v67
	s_mov_b32 s25, s8
	v_pk_mul_f32 v[88:89], v[116:117], s[8:9]
	s_mov_b32 s22, 0xbf6f5d39
	v_pk_fma_f32 v[30:31], v[80:81], s[24:25], v[88:89] neg_lo:[1,0,0] neg_hi:[1,0,0]
	v_pk_fma_f32 v[86:87], v[80:81], s[24:25], v[88:89]
	s_mov_b32 s20, 0xbeb58ec6
	v_mov_b32_e32 v31, v87
	v_pk_add_f32 v[32:33], v[30:31], v[28:29]
	v_pk_add_f32 v[30:31], v[8:9], v[14:15] neg_lo:[0,1] neg_hi:[0,1]
	v_pk_add_f32 v[28:29], v[14:15], v[8:9]
	v_pk_mul_f32 v[34:35], v[30:31], s[22:23] op_sel_hi:[1,0]
	v_mov_b32_e32 v91, v113
	v_mov_b32_e32 v113, v70
	v_pk_fma_f32 v[64:65], v[28:29], s[20:21], v[34:35] op_sel:[0,0,1] op_sel_hi:[1,0,0]
	v_pk_fma_f32 v[66:67], v[28:29], s[20:21], v[34:35] op_sel:[0,0,1] op_sel_hi:[1,0,0] neg_lo:[0,0,1] neg_hi:[0,0,1]
	s_mov_b32 s21, s22
	v_mov_b32_e32 v90, v71
	s_mov_b32 s23, s20
	v_pk_mul_f32 v[98:99], v[112:113], s[20:21]
	s_mov_b32 s28, 0xbf29c268
	v_pk_fma_f32 v[34:35], v[90:91], s[22:23], v[98:99] neg_lo:[1,0,0] neg_hi:[1,0,0]
	v_pk_fma_f32 v[96:97], v[90:91], s[22:23], v[98:99]
	s_mov_b32 s26, 0xbf3f9e67
	v_mov_b32_e32 v35, v97
	v_pk_add_f32 v[36:37], v[34:35], v[32:33]
	v_pk_add_f32 v[34:35], v[10:11], v[12:13] neg_lo:[0,1] neg_hi:[0,1]
	v_pk_add_f32 v[32:33], v[12:13], v[10:11]
	v_pk_mul_f32 v[38:39], v[34:35], s[28:29] op_sel_hi:[1,0]
	v_mov_b32_e32 v100, v73
	v_mov_b32_e32 v101, v111
	;; [unrolled: 1-line block ×3, first 2 shown]
	v_pk_fma_f32 v[70:71], v[32:33], s[26:27], v[38:39] op_sel:[0,0,1] op_sel_hi:[1,0,0]
	v_pk_fma_f32 v[72:73], v[32:33], s[26:27], v[38:39] op_sel:[0,0,1] op_sel_hi:[1,0,0] neg_lo:[0,0,1] neg_hi:[0,0,1]
	s_mov_b32 s27, s28
	s_mov_b32 s29, s26
	v_pk_mul_f32 v[104:105], v[110:111], s[26:27]
	s_mov_b32 s34, 0xbe750f2a
	v_pk_fma_f32 v[38:39], v[100:101], s[28:29], v[104:105] neg_lo:[1,0,0] neg_hi:[1,0,0]
	v_pk_fma_f32 v[102:103], v[100:101], s[28:29], v[104:105]
	s_mov_b32 s30, 0xbf788fa5
	v_mov_b32_e32 v39, v103
	v_pk_add_f32 v[126:127], v[38:39], v[36:37]
	v_pk_add_f32 v[38:39], v[4:5], v[6:7] neg_lo:[0,1] neg_hi:[0,1]
	v_pk_add_f32 v[36:37], v[6:7], v[4:5]
	v_pk_mul_f32 v[94:95], v[38:39], s[34:35] op_sel_hi:[1,0]
	v_mov_b32_e32 v106, v93
	v_mov_b32_e32 v107, v109
	;; [unrolled: 1-line block ×3, first 2 shown]
	v_pk_fma_f32 v[92:93], v[36:37], s[30:31], v[94:95] op_sel:[0,0,1] op_sel_hi:[1,0,0]
	v_pk_fma_f32 v[94:95], v[36:37], s[30:31], v[94:95] op_sel:[0,0,1] op_sel_hi:[1,0,0] neg_lo:[0,0,1] neg_hi:[0,0,1]
	s_mov_b32 s31, s34
	s_mov_b32 s35, s30
	v_pk_mul_f32 v[118:119], v[108:109], s[30:31]
	v_mul_lo_u16_e32 v75, 13, v226
	v_pk_fma_f32 v[128:129], v[106:107], s[34:35], v[118:119] neg_lo:[1,0,0] neg_hi:[1,0,0]
	v_pk_fma_f32 v[114:115], v[106:107], s[34:35], v[118:119]
	v_lshl_add_u32 v238, v75, 3, v199
	v_mov_b32_e32 v129, v115
	v_pk_add_f32 v[126:127], v[128:129], v[126:127]
	s_barrier
	ds_write2_b64 v238, v[124:125], v[126:127] offset1:1
	v_pk_mul_f32 v[126:127], v[122:123], s[14:15]
	v_pk_mul_f32 v[130:131], v[120:121], s[20:21]
	v_pk_fma_f32 v[128:129], v[78:79], s[18:19], v[126:127] neg_lo:[1,0,0] neg_hi:[1,0,0]
	v_pk_fma_f32 v[124:125], v[78:79], s[18:19], v[126:127]
	v_pk_fma_f32 v[134:135], v[68:69], s[22:23], v[130:131] neg_lo:[1,0,0] neg_hi:[1,0,0]
	v_mov_b32_e32 v129, v125
	v_pk_add_f32 v[132:133], v[24:25], v[128:129]
	v_pk_fma_f32 v[128:129], v[68:69], s[22:23], v[130:131]
	s_mov_b32 s40, 0x3f29c268
	v_mov_b32_e32 v135, v129
	v_pk_add_f32 v[136:137], v[134:135], v[132:133]
	v_pk_mul_f32 v[134:135], v[116:117], s[30:31]
	s_mov_b32 s42, s26
	v_pk_fma_f32 v[138:139], v[80:81], s[34:35], v[134:135] neg_lo:[1,0,0] neg_hi:[1,0,0]
	v_pk_fma_f32 v[132:133], v[80:81], s[34:35], v[134:135]
	s_mov_b32 s43, s40
	v_mov_b32_e32 v139, v133
	v_pk_add_f32 v[140:141], v[138:139], v[136:137]
	s_mov_b32 s41, s26
	v_pk_mul_f32 v[138:139], v[112:113], s[42:43]
	s_mov_b32 s36, 0x3f7e222b
	v_pk_fma_f32 v[142:143], v[90:91], s[40:41], v[138:139] neg_lo:[1,0,0] neg_hi:[1,0,0]
	v_pk_fma_f32 v[136:137], v[90:91], s[40:41], v[138:139]
	s_mov_b32 s50, s8
	v_mov_b32_e32 v143, v137
	s_mov_b32 s51, s36
	v_pk_add_f32 v[144:145], v[142:143], v[140:141]
	s_mov_b32 s37, s8
	v_pk_mul_f32 v[142:143], v[110:111], s[50:51]
	s_mov_b32 s38, 0x3eedf032
	v_pk_fma_f32 v[146:147], v[100:101], s[36:37], v[142:143] neg_lo:[1,0,0] neg_hi:[1,0,0]
	v_pk_fma_f32 v[140:141], v[100:101], s[36:37], v[142:143]
	s_mov_b32 s17, s38
	v_mov_b32_e32 v147, v141
	v_pk_add_f32 v[148:149], v[146:147], v[144:145]
	s_mov_b32 s39, s16
	v_pk_mul_f32 v[146:147], v[108:109], s[16:17]
	v_pk_mul_f32 v[154:155], v[120:121], s[30:31]
	v_pk_fma_f32 v[150:151], v[106:107], s[38:39], v[146:147] neg_lo:[1,0,0] neg_hi:[1,0,0]
	v_pk_fma_f32 v[144:145], v[106:107], s[38:39], v[146:147]
	v_pk_fma_f32 v[158:159], v[68:69], s[34:35], v[154:155] neg_lo:[1,0,0] neg_hi:[1,0,0]
	v_mov_b32_e32 v151, v145
	v_pk_add_f32 v[166:167], v[150:151], v[148:149]
	v_pk_mul_f32 v[150:151], v[122:123], s[8:9]
	s_mov_b32 s48, 0x3f6f5d39
	v_pk_fma_f32 v[152:153], v[78:79], s[24:25], v[150:151] neg_lo:[1,0,0] neg_hi:[1,0,0]
	v_pk_fma_f32 v[148:149], v[78:79], s[24:25], v[150:151]
	s_mov_b32 s46, s20
	v_mov_b32_e32 v153, v149
	v_pk_add_f32 v[156:157], v[24:25], v[152:153]
	v_pk_fma_f32 v[152:153], v[68:69], s[34:35], v[154:155]
	s_mov_b32 s47, s48
	v_mov_b32_e32 v159, v153
	v_pk_add_f32 v[160:161], v[158:159], v[156:157]
	s_mov_b32 s49, s20
	v_pk_mul_f32 v[158:159], v[116:117], s[46:47]
	v_pk_mul_f32 v[170:171], v[110:111], s[14:15]
	v_pk_fma_f32 v[162:163], v[80:81], s[48:49], v[158:159] neg_lo:[1,0,0] neg_hi:[1,0,0]
	v_pk_fma_f32 v[156:157], v[80:81], s[48:49], v[158:159]
	v_pk_fma_f32 v[172:173], v[100:101], s[18:19], v[170:171] neg_lo:[1,0,0] neg_hi:[1,0,0]
	v_mov_b32_e32 v163, v157
	v_pk_add_f32 v[164:165], v[162:163], v[160:161]
	v_pk_mul_f32 v[162:163], v[112:113], s[16:17]
	v_pk_mul_f32 v[178:179], v[120:121], s[42:43]
	v_pk_fma_f32 v[168:169], v[90:91], s[38:39], v[162:163] neg_lo:[1,0,0] neg_hi:[1,0,0]
	v_pk_fma_f32 v[160:161], v[90:91], s[38:39], v[162:163]
	v_pk_fma_f32 v[180:181], v[68:69], s[40:41], v[178:179] neg_lo:[1,0,0] neg_hi:[1,0,0]
	v_mov_b32_e32 v169, v161
	v_pk_add_f32 v[168:169], v[168:169], v[164:165]
	v_pk_fma_f32 v[164:165], v[100:101], s[18:19], v[170:171]
	v_pk_fma_f32 v[182:183], v[68:69], s[40:41], v[178:179]
	v_mov_b32_e32 v173, v165
	v_pk_add_f32 v[168:169], v[172:173], v[168:169]
	v_pk_mul_f32 v[172:173], v[108:109], s[26:27]
	v_mov_b32_e32 v181, v183
	v_pk_fma_f32 v[174:175], v[106:107], s[28:29], v[172:173] neg_lo:[1,0,0] neg_hi:[1,0,0]
	v_pk_fma_f32 v[176:177], v[106:107], s[28:29], v[172:173]
	s_mov_b32 s46, 0x3e750f2a
	v_mov_b32_e32 v175, v177
	v_pk_add_f32 v[168:169], v[174:175], v[168:169]
	ds_write2_b64 v238, v[166:167], v[168:169] offset0:2 offset1:3
	v_pk_mul_f32 v[166:167], v[122:123], s[20:21]
	s_mov_b32 s52, s30
	v_pk_fma_f32 v[168:169], v[78:79], s[22:23], v[166:167] neg_lo:[1,0,0] neg_hi:[1,0,0]
	v_pk_fma_f32 v[174:175], v[78:79], s[22:23], v[166:167]
	s_mov_b32 s53, s46
	v_mov_b32_e32 v169, v175
	v_pk_add_f32 v[168:169], v[24:25], v[168:169]
	s_mov_b32 s47, s30
	v_pk_add_f32 v[168:169], v[180:181], v[168:169]
	v_pk_mul_f32 v[180:181], v[116:117], s[16:17]
	s_mov_b32 s42, 0x3f52af12
	v_pk_fma_f32 v[184:185], v[80:81], s[38:39], v[180:181] neg_lo:[1,0,0] neg_hi:[1,0,0]
	v_pk_fma_f32 v[186:187], v[80:81], s[38:39], v[180:181]
	s_mov_b32 s54, s14
	v_mov_b32_e32 v185, v187
	v_pk_add_f32 v[168:169], v[184:185], v[168:169]
	v_pk_mul_f32 v[184:185], v[112:113], s[8:9]
	s_mov_b32 s55, s42
	v_pk_fma_f32 v[188:189], v[90:91], s[24:25], v[184:185] neg_lo:[1,0,0] neg_hi:[1,0,0]
	v_pk_fma_f32 v[190:191], v[90:91], s[24:25], v[184:185]
	s_mov_b32 s43, s14
	v_mov_b32_e32 v189, v191
	v_pk_add_f32 v[168:169], v[188:189], v[168:169]
	v_pk_mul_f32 v[188:189], v[110:111], s[52:53]
	v_pk_mul_f32 v[206:207], v[120:121], s[50:51]
	v_pk_fma_f32 v[192:193], v[100:101], s[46:47], v[188:189] neg_lo:[1,0,0] neg_hi:[1,0,0]
	v_pk_fma_f32 v[194:195], v[100:101], s[46:47], v[188:189]
	v_pk_fma_f32 v[208:209], v[68:69], s[36:37], v[206:207] neg_lo:[1,0,0] neg_hi:[1,0,0]
	v_mov_b32_e32 v193, v195
	v_pk_add_f32 v[168:169], v[192:193], v[168:169]
	v_pk_mul_f32 v[192:193], v[108:109], s[54:55]
	v_pk_fma_f32 v[210:211], v[68:69], s[36:37], v[206:207]
	v_pk_fma_f32 v[196:197], v[106:107], s[42:43], v[192:193] neg_lo:[1,0,0] neg_hi:[1,0,0]
	v_pk_fma_f32 v[200:201], v[106:107], s[42:43], v[192:193]
	v_mov_b32_e32 v209, v211
	v_mov_b32_e32 v197, v201
	v_pk_add_f32 v[168:169], v[196:197], v[168:169]
	v_pk_mul_f32 v[196:197], v[122:123], s[26:27]
	v_accvgpr_write_b32 a12, v226
	v_pk_fma_f32 v[202:203], v[78:79], s[28:29], v[196:197] neg_lo:[1,0,0] neg_hi:[1,0,0]
	v_pk_fma_f32 v[204:205], v[78:79], s[28:29], v[196:197]
	v_accvgpr_write_b32 a13, v227
	v_mov_b32_e32 v203, v205
	v_pk_add_f32 v[202:203], v[24:25], v[202:203]
	v_pk_mul_f32 v[122:123], v[122:123], s[30:31]
	v_pk_add_f32 v[202:203], v[208:209], v[202:203]
	v_pk_mul_f32 v[208:209], v[116:117], s[14:15]
	v_pk_mul_f32 v[120:121], v[120:121], s[16:17]
	v_pk_fma_f32 v[212:213], v[80:81], s[18:19], v[208:209] neg_lo:[1,0,0] neg_hi:[1,0,0]
	v_pk_fma_f32 v[214:215], v[80:81], s[18:19], v[208:209]
	v_pk_fma_f32 v[228:229], v[68:69], s[38:39], v[120:121]
	v_mov_b32_e32 v213, v215
	v_pk_add_f32 v[202:203], v[212:213], v[202:203]
	v_pk_mul_f32 v[212:213], v[112:113], s[52:53]
	v_pk_mul_f32 v[116:117], v[116:117], s[26:27]
	v_pk_fma_f32 v[216:217], v[90:91], s[46:47], v[212:213] neg_lo:[1,0,0] neg_hi:[1,0,0]
	v_pk_fma_f32 v[218:219], v[90:91], s[46:47], v[212:213]
	v_pk_fma_f32 v[230:231], v[80:81], s[28:29], v[116:117]
	v_mov_b32_e32 v217, v219
	;; [unrolled: 7-line block ×4, first 2 shown]
	v_pk_add_f32 v[202:203], v[224:225], v[202:203]
	ds_write2_b64 v238, v[168:169], v[202:203] offset0:4 offset1:5
	v_pk_fma_f32 v[168:169], v[78:79], s[34:35], v[122:123] neg_lo:[1,0,0] neg_hi:[1,0,0]
	v_pk_fma_f32 v[202:203], v[78:79], s[34:35], v[122:123]
	v_pk_fma_f32 v[224:225], v[68:69], s[38:39], v[120:121] neg_lo:[1,0,0] neg_hi:[1,0,0]
	v_mov_b32_e32 v169, v203
	v_pk_add_f32 v[168:169], v[24:25], v[168:169]
	v_mov_b32_e32 v225, v229
	v_pk_add_f32 v[168:169], v[224:225], v[168:169]
	v_pk_fma_f32 v[224:225], v[80:81], s[28:29], v[116:117] neg_lo:[1,0,0] neg_hi:[1,0,0]
	v_pk_fma_f32 v[122:123], v[78:79], s[34:35], v[122:123] neg_lo:[0,0,1] neg_hi:[0,0,1]
	v_mov_b32_e32 v225, v231
	v_pk_add_f32 v[168:169], v[224:225], v[168:169]
	v_pk_fma_f32 v[224:225], v[90:91], s[42:43], v[112:113] neg_lo:[1,0,0] neg_hi:[1,0,0]
	v_mov_b32_e32 v203, v123
	v_pk_fma_f32 v[120:121], v[68:69], s[38:39], v[120:121] neg_lo:[0,0,1] neg_hi:[0,0,1]
	v_mov_b32_e32 v225, v233
	v_mov_b32_e32 v229, v121
	v_pk_add_f32 v[120:121], v[24:25], v[202:203]
	v_pk_fma_f32 v[116:117], v[80:81], s[28:29], v[116:117] neg_lo:[0,0,1] neg_hi:[0,0,1]
	v_pk_add_f32 v[168:169], v[224:225], v[168:169]
	v_pk_fma_f32 v[224:225], v[100:101], s[22:23], v[110:111] neg_lo:[1,0,0] neg_hi:[1,0,0]
	v_pk_add_f32 v[120:121], v[228:229], v[120:121]
	v_mov_b32_e32 v231, v117
	v_pk_fma_f32 v[112:113], v[90:91], s[42:43], v[112:113] neg_lo:[0,0,1] neg_hi:[0,0,1]
	v_mov_b32_e32 v225, v235
	v_pk_mul_f32 v[108:109], v[108:109], s[50:51]
	v_pk_add_f32 v[116:117], v[230:231], v[120:121]
	v_mov_b32_e32 v233, v113
	v_pk_fma_f32 v[110:111], v[100:101], s[22:23], v[110:111] neg_lo:[0,0,1] neg_hi:[0,0,1]
	v_pk_add_f32 v[168:169], v[224:225], v[168:169]
	v_pk_fma_f32 v[224:225], v[106:107], s[36:37], v[108:109] neg_lo:[1,0,0] neg_hi:[1,0,0]
	v_pk_fma_f32 v[236:237], v[106:107], s[36:37], v[108:109]
	v_pk_add_f32 v[112:113], v[232:233], v[116:117]
	v_mov_b32_e32 v235, v111
	v_pk_fma_f32 v[108:109], v[106:107], s[36:37], v[108:109] neg_lo:[0,0,1] neg_hi:[0,0,1]
	v_mov_b32_e32 v225, v237
	v_pk_add_f32 v[110:111], v[234:235], v[112:113]
	v_mov_b32_e32 v237, v109
	v_pk_add_f32 v[108:109], v[236:237], v[110:111]
	v_pk_fma_f32 v[110:111], v[80:81], s[18:19], v[208:209] neg_lo:[0,0,1] neg_hi:[0,0,1]
	v_pk_add_f32 v[168:169], v[224:225], v[168:169]
	v_mov_b32_e32 v215, v111
	v_pk_fma_f32 v[110:111], v[90:91], s[46:47], v[212:213] neg_lo:[0,0,1] neg_hi:[0,0,1]
	ds_write2_b64 v238, v[168:169], v[108:109] offset0:6 offset1:7
	v_mov_b32_e32 v219, v111
	v_pk_fma_f32 v[110:111], v[100:101], s[38:39], v[216:217] neg_lo:[0,0,1] neg_hi:[0,0,1]
	v_pk_fma_f32 v[108:109], v[78:79], s[28:29], v[196:197] neg_lo:[0,0,1] neg_hi:[0,0,1]
	v_mov_b32_e32 v223, v111
	v_pk_fma_f32 v[110:111], v[106:107], s[22:23], v[220:221] neg_lo:[0,0,1] neg_hi:[0,0,1]
	v_mov_b32_e32 v205, v109
	v_mov_b32_e32 v227, v111
	v_pk_fma_f32 v[110:111], v[78:79], s[22:23], v[166:167] neg_lo:[0,0,1] neg_hi:[0,0,1]
	v_pk_fma_f32 v[108:109], v[68:69], s[36:37], v[206:207] neg_lo:[0,0,1] neg_hi:[0,0,1]
	v_mov_b32_e32 v175, v111
	v_pk_fma_f32 v[110:111], v[68:69], s[40:41], v[178:179] neg_lo:[0,0,1] neg_hi:[0,0,1]
	v_mov_b32_e32 v211, v109
	v_pk_add_f32 v[108:109], v[24:25], v[204:205]
	v_mov_b32_e32 v183, v111
	v_pk_add_f32 v[110:111], v[24:25], v[174:175]
	v_pk_fma_f32 v[112:113], v[80:81], s[38:39], v[180:181] neg_lo:[0,0,1] neg_hi:[0,0,1]
	v_pk_add_f32 v[108:109], v[210:211], v[108:109]
	v_pk_add_f32 v[110:111], v[182:183], v[110:111]
	v_mov_b32_e32 v187, v113
	v_pk_fma_f32 v[112:113], v[90:91], s[24:25], v[184:185] neg_lo:[0,0,1] neg_hi:[0,0,1]
	v_pk_add_f32 v[108:109], v[214:215], v[108:109]
	v_pk_add_f32 v[110:111], v[186:187], v[110:111]
	v_mov_b32_e32 v191, v113
	;; [unrolled: 4-line block ×4, first 2 shown]
	v_pk_add_f32 v[108:109], v[226:227], v[108:109]
	v_pk_add_f32 v[110:111], v[200:201], v[110:111]
	ds_write2_b64 v238, v[108:109], v[110:111] offset0:8 offset1:9
	v_pk_fma_f32 v[110:111], v[80:81], s[48:49], v[158:159] neg_lo:[0,0,1] neg_hi:[0,0,1]
	v_pk_fma_f32 v[108:109], v[78:79], s[24:25], v[150:151] neg_lo:[0,0,1] neg_hi:[0,0,1]
	v_mov_b32_e32 v157, v111
	v_pk_fma_f32 v[110:111], v[90:91], s[38:39], v[162:163] neg_lo:[0,0,1] neg_hi:[0,0,1]
	v_mov_b32_e32 v149, v109
	v_mov_b32_e32 v161, v111
	v_pk_fma_f32 v[110:111], v[100:101], s[18:19], v[170:171] neg_lo:[0,0,1] neg_hi:[0,0,1]
	v_pk_fma_f32 v[108:109], v[68:69], s[34:35], v[154:155] neg_lo:[0,0,1] neg_hi:[0,0,1]
	v_mov_b32_e32 v165, v111
	v_pk_fma_f32 v[110:111], v[106:107], s[28:29], v[172:173] neg_lo:[0,0,1] neg_hi:[0,0,1]
	v_mov_b32_e32 v153, v109
	v_mov_b32_e32 v177, v111
	;; [unrolled: 6-line block ×3, first 2 shown]
	v_mov_b32_e32 v79, v43
	v_pk_fma_f32 v[68:69], v[68:69], s[18:19], v[76:77] neg_lo:[0,0,1] neg_hi:[0,0,1]
	v_pk_add_f32 v[108:109], v[24:25], v[148:149]
	v_mov_b32_e32 v129, v111
	v_pk_add_f32 v[110:111], v[24:25], v[124:125]
	v_pk_add_f32 v[24:25], v[24:25], v[82:83]
	;; [unrolled: 1-line block ×3, first 2 shown]
	v_mov_b32_e32 v82, v46
	v_mov_b32_e32 v83, v59
	;; [unrolled: 1-line block ×3, first 2 shown]
	v_pk_fma_f32 v[68:69], v[80:81], s[24:25], v[88:89] neg_lo:[0,0,1] neg_hi:[0,0,1]
	v_pk_add_f32 v[78:79], v[82:83], v[78:79]
	v_mov_b32_e32 v82, v60
	v_mov_b32_e32 v83, v63
	v_pk_add_f32 v[24:25], v[74:75], v[24:25]
	v_mov_b32_e32 v87, v69
	v_pk_fma_f32 v[68:69], v[90:91], s[22:23], v[98:99] neg_lo:[0,0,1] neg_hi:[0,0,1]
	v_pk_fma_f32 v[112:113], v[80:81], s[34:35], v[134:135] neg_lo:[0,0,1] neg_hi:[0,0,1]
	v_pk_add_f32 v[78:79], v[82:83], v[78:79]
	v_mov_b32_e32 v82, v64
	v_mov_b32_e32 v83, v67
	v_pk_add_f32 v[24:25], v[86:87], v[24:25]
	v_mov_b32_e32 v97, v69
	v_pk_fma_f32 v[68:69], v[100:101], s[28:29], v[104:105] neg_lo:[0,0,1] neg_hi:[0,0,1]
	v_accvgpr_read_b32 v227, a13
	v_pk_add_f32 v[108:109], v[152:153], v[108:109]
	v_pk_add_f32 v[110:111], v[128:129], v[110:111]
	v_mov_b32_e32 v133, v113
	v_pk_fma_f32 v[112:113], v[90:91], s[40:41], v[138:139] neg_lo:[0,0,1] neg_hi:[0,0,1]
	v_pk_add_f32 v[78:79], v[82:83], v[78:79]
	v_mov_b32_e32 v82, v70
	v_mov_b32_e32 v83, v73
	v_pk_add_f32 v[24:25], v[96:97], v[24:25]
	v_mov_b32_e32 v103, v69
	v_pk_fma_f32 v[68:69], v[106:107], s[34:35], v[118:119] neg_lo:[0,0,1] neg_hi:[0,0,1]
	v_accvgpr_read_b32 v226, a12
	v_pk_add_f32 v[108:109], v[156:157], v[108:109]
	v_pk_add_f32 v[110:111], v[132:133], v[110:111]
	v_mov_b32_e32 v137, v113
	v_pk_fma_f32 v[112:113], v[100:101], s[36:37], v[142:143] neg_lo:[0,0,1] neg_hi:[0,0,1]
	v_pk_add_f32 v[78:79], v[82:83], v[78:79]
	v_mov_b32_e32 v82, v92
	v_mov_b32_e32 v83, v95
	s_mov_b64 s[44:45], 0x41
	v_pk_add_f32 v[24:25], v[102:103], v[24:25]
	v_mov_b32_e32 v115, v69
	v_pk_add_f32 v[108:109], v[160:161], v[108:109]
	v_pk_add_f32 v[110:111], v[136:137], v[110:111]
	v_mov_b32_e32 v141, v113
	v_pk_fma_f32 v[112:113], v[106:107], s[38:39], v[146:147] neg_lo:[0,0,1] neg_hi:[0,0,1]
	v_pk_add_f32 v[78:79], v[82:83], v[78:79]
	v_lshl_add_u64 v[88:89], v[226:227], 0, s[44:45]
	v_pk_add_f32 v[24:25], v[114:115], v[24:25]
	v_pk_add_f32 v[108:109], v[164:165], v[108:109]
	;; [unrolled: 1-line block ×3, first 2 shown]
	v_mov_b32_e32 v145, v113
	v_accvgpr_write_b32 a42, v78
	ds_write_b64 v238, v[24:25] offset:96
	v_mul_u32_u24_e32 v24, 13, v88
	v_pk_add_f32 v[108:109], v[176:177], v[108:109]
	v_pk_add_f32 v[110:111], v[144:145], v[110:111]
	v_accvgpr_write_b32 a43, v79
	v_accvgpr_write_b32 a44, v24
	ds_write2_b64 v238, v[108:109], v[110:111] offset0:10 offset1:11
	s_and_saveexec_b64 s[44:45], s[2:3]
	s_cbranch_execz .LBB0_7
; %bb.6:
	v_pk_add_f32 v[2:3], v[2:3], v[0:1]
	v_mov_b32_e32 v43, v41
	v_pk_add_f32 v[2:3], v[16:17], v[2:3]
	v_mov_b32_e32 v59, v47
	;; [unrolled: 2-line block ×5, first 2 shown]
	v_pk_add_f32 v[2:3], v[4:5], v[2:3]
	v_pk_add_f32 v[4:5], v[42:43], v[0:1]
	;; [unrolled: 1-line block ×9, first 2 shown]
	v_accvgpr_read_b32 v24, a44
	v_pk_add_f32 v[2:3], v[22:23], v[2:3]
	v_pk_add_f32 v[4:5], v[72:73], v[4:5]
	v_mov_b32_e32 v95, v93
	v_lshl_add_u32 v89, v24, 3, v199
	v_pk_add_f32 v[2:3], v[56:57], v[2:3]
	v_pk_add_f32 v[4:5], v[94:95], v[4:5]
	ds_write2_b64 v89, v[2:3], v[4:5] offset1:1
	v_pk_mul_f32 v[4:5], v[54:55], s[18:19] op_sel_hi:[1,0]
	v_pk_mul_f32 v[8:9], v[50:51], s[22:23] op_sel_hi:[1,0]
	v_pk_fma_f32 v[2:3], v[52:53], s[14:15], v[4:5] op_sel:[0,0,1] op_sel_hi:[1,0,0] neg_lo:[0,0,1] neg_hi:[0,0,1]
	v_pk_fma_f32 v[4:5], v[52:53], s[14:15], v[4:5] op_sel:[0,0,1] op_sel_hi:[1,0,0]
	v_mov_b32_e32 v6, v2
	v_mov_b32_e32 v7, v5
	v_pk_add_f32 v[10:11], v[6:7], v[0:1]
	v_pk_fma_f32 v[6:7], v[48:49], s[20:21], v[8:9] op_sel:[0,0,1] op_sel_hi:[1,0,0] neg_lo:[0,0,1] neg_hi:[0,0,1]
	v_pk_fma_f32 v[8:9], v[48:49], s[20:21], v[8:9] op_sel:[0,0,1] op_sel_hi:[1,0,0]
	v_mov_b32_e32 v12, v6
	v_mov_b32_e32 v13, v9
	v_pk_add_f32 v[14:15], v[12:13], v[10:11]
	v_pk_mul_f32 v[12:13], v[44:45], s[34:35] op_sel_hi:[1,0]
	v_pk_mul_f32 v[58:59], v[50:51], s[34:35] op_sel_hi:[1,0]
	v_pk_fma_f32 v[10:11], v[26:27], s[30:31], v[12:13] op_sel:[0,0,1] op_sel_hi:[1,0,0] neg_lo:[0,0,1] neg_hi:[0,0,1]
	v_pk_fma_f32 v[12:13], v[26:27], s[30:31], v[12:13] op_sel:[0,0,1] op_sel_hi:[1,0,0]
	v_mov_b32_e32 v16, v10
	v_mov_b32_e32 v17, v13
	v_pk_add_f32 v[18:19], v[16:17], v[14:15]
	v_pk_mul_f32 v[16:17], v[30:31], s[40:41] op_sel_hi:[1,0]
	v_pk_fma_f32 v[60:61], v[48:49], s[30:31], v[58:59] op_sel:[0,0,1] op_sel_hi:[1,0,0] neg_lo:[0,0,1] neg_hi:[0,0,1]
	v_pk_fma_f32 v[14:15], v[28:29], s[26:27], v[16:17] op_sel:[0,0,1] op_sel_hi:[1,0,0] neg_lo:[0,0,1] neg_hi:[0,0,1]
	v_pk_fma_f32 v[16:17], v[28:29], s[26:27], v[16:17] op_sel:[0,0,1] op_sel_hi:[1,0,0]
	v_mov_b32_e32 v20, v14
	v_mov_b32_e32 v21, v17
	v_pk_add_f32 v[22:23], v[20:21], v[18:19]
	v_pk_mul_f32 v[20:21], v[34:35], s[36:37] op_sel_hi:[1,0]
	v_pk_fma_f32 v[58:59], v[48:49], s[30:31], v[58:59] op_sel:[0,0,1] op_sel_hi:[1,0,0]
	v_pk_fma_f32 v[18:19], v[32:33], s[8:9], v[20:21] op_sel:[0,0,1] op_sel_hi:[1,0,0] neg_lo:[0,0,1] neg_hi:[0,0,1]
	v_pk_fma_f32 v[20:21], v[32:33], s[8:9], v[20:21] op_sel:[0,0,1] op_sel_hi:[1,0,0]
	v_mov_b32_e32 v24, v18
	v_mov_b32_e32 v25, v21
	v_pk_add_f32 v[40:41], v[24:25], v[22:23]
	v_pk_mul_f32 v[24:25], v[38:39], s[38:39] op_sel_hi:[1,0]
	v_mov_b32_e32 v62, v60
	v_pk_fma_f32 v[22:23], v[36:37], s[16:17], v[24:25] op_sel:[0,0,1] op_sel_hi:[1,0,0] neg_lo:[0,0,1] neg_hi:[0,0,1]
	v_pk_fma_f32 v[24:25], v[36:37], s[16:17], v[24:25] op_sel:[0,0,1] op_sel_hi:[1,0,0]
	v_mov_b32_e32 v42, v22
	v_mov_b32_e32 v43, v25
	v_pk_add_f32 v[40:41], v[42:43], v[40:41]
	v_pk_mul_f32 v[42:43], v[54:55], s[24:25] op_sel_hi:[1,0]
	v_mov_b32_e32 v63, v59
	v_pk_fma_f32 v[46:47], v[52:53], s[8:9], v[42:43] op_sel:[0,0,1] op_sel_hi:[1,0,0] neg_lo:[0,0,1] neg_hi:[0,0,1]
	v_pk_fma_f32 v[42:43], v[52:53], s[8:9], v[42:43] op_sel:[0,0,1] op_sel_hi:[1,0,0]
	v_mov_b32_e32 v56, v46
	v_mov_b32_e32 v57, v43
	v_pk_add_f32 v[56:57], v[56:57], v[0:1]
	v_pk_mul_f32 v[80:81], v[50:51], s[40:41] op_sel_hi:[1,0]
	v_pk_add_f32 v[56:57], v[62:63], v[56:57]
	v_pk_mul_f32 v[62:63], v[44:45], s[48:49] op_sel_hi:[1,0]
	v_pk_fma_f32 v[82:83], v[48:49], s[26:27], v[80:81] op_sel:[0,0,1] op_sel_hi:[1,0,0] neg_lo:[0,0,1] neg_hi:[0,0,1]
	v_pk_fma_f32 v[64:65], v[26:27], s[20:21], v[62:63] op_sel:[0,0,1] op_sel_hi:[1,0,0] neg_lo:[0,0,1] neg_hi:[0,0,1]
	v_pk_fma_f32 v[62:63], v[26:27], s[20:21], v[62:63] op_sel:[0,0,1] op_sel_hi:[1,0,0]
	v_mov_b32_e32 v66, v64
	v_mov_b32_e32 v67, v63
	v_pk_add_f32 v[56:57], v[66:67], v[56:57]
	v_pk_mul_f32 v[66:67], v[30:31], s[38:39] op_sel_hi:[1,0]
	v_pk_fma_f32 v[80:81], v[48:49], s[26:27], v[80:81] op_sel:[0,0,1] op_sel_hi:[1,0,0]
	v_pk_fma_f32 v[68:69], v[28:29], s[16:17], v[66:67] op_sel:[0,0,1] op_sel_hi:[1,0,0] neg_lo:[0,0,1] neg_hi:[0,0,1]
	v_pk_fma_f32 v[66:67], v[28:29], s[16:17], v[66:67] op_sel:[0,0,1] op_sel_hi:[1,0,0]
	v_mov_b32_e32 v70, v68
	v_mov_b32_e32 v71, v67
	v_pk_add_f32 v[56:57], v[70:71], v[56:57]
	v_pk_mul_f32 v[70:71], v[34:35], s[18:19] op_sel_hi:[1,0]
	v_mov_b32_e32 v84, v82
	v_pk_fma_f32 v[72:73], v[32:33], s[14:15], v[70:71] op_sel:[0,0,1] op_sel_hi:[1,0,0] neg_lo:[0,0,1] neg_hi:[0,0,1]
	v_pk_fma_f32 v[70:71], v[32:33], s[14:15], v[70:71] op_sel:[0,0,1] op_sel_hi:[1,0,0]
	v_mov_b32_e32 v74, v72
	v_mov_b32_e32 v75, v71
	v_pk_add_f32 v[56:57], v[74:75], v[56:57]
	v_pk_mul_f32 v[74:75], v[38:39], s[28:29] op_sel_hi:[1,0]
	v_mov_b32_e32 v85, v81
	v_pk_fma_f32 v[76:77], v[36:37], s[26:27], v[74:75] op_sel:[0,0,1] op_sel_hi:[1,0,0] neg_lo:[0,0,1] neg_hi:[0,0,1]
	v_pk_fma_f32 v[74:75], v[36:37], s[26:27], v[74:75] op_sel:[0,0,1] op_sel_hi:[1,0,0]
	v_mov_b32_e32 v78, v76
	v_mov_b32_e32 v79, v75
	v_pk_add_f32 v[56:57], v[78:79], v[56:57]
	ds_write2_b64 v89, v[40:41], v[56:57] offset0:2 offset1:3
	v_pk_mul_f32 v[40:41], v[54:55], s[22:23] op_sel_hi:[1,0]
	v_pk_mul_f32 v[108:109], v[50:51], s[36:37] op_sel_hi:[1,0]
	v_pk_fma_f32 v[56:57], v[52:53], s[20:21], v[40:41] op_sel:[0,0,1] op_sel_hi:[1,0,0] neg_lo:[0,0,1] neg_hi:[0,0,1]
	v_pk_fma_f32 v[40:41], v[52:53], s[20:21], v[40:41] op_sel:[0,0,1] op_sel_hi:[1,0,0]
	v_mov_b32_e32 v78, v56
	v_mov_b32_e32 v79, v41
	v_pk_add_f32 v[78:79], v[78:79], v[0:1]
	v_pk_fma_f32 v[110:111], v[48:49], s[8:9], v[108:109] op_sel:[0,0,1] op_sel_hi:[1,0,0] neg_lo:[0,0,1] neg_hi:[0,0,1]
	v_pk_add_f32 v[78:79], v[84:85], v[78:79]
	v_pk_mul_f32 v[84:85], v[44:45], s[38:39] op_sel_hi:[1,0]
	v_pk_fma_f32 v[108:109], v[48:49], s[8:9], v[108:109] op_sel:[0,0,1] op_sel_hi:[1,0,0]
	v_pk_fma_f32 v[86:87], v[26:27], s[16:17], v[84:85] op_sel:[0,0,1] op_sel_hi:[1,0,0] neg_lo:[0,0,1] neg_hi:[0,0,1]
	v_pk_fma_f32 v[84:85], v[26:27], s[16:17], v[84:85] op_sel:[0,0,1] op_sel_hi:[1,0,0]
	v_mov_b32_e32 v90, v86
	v_mov_b32_e32 v91, v85
	v_pk_add_f32 v[78:79], v[90:91], v[78:79]
	v_pk_mul_f32 v[90:91], v[30:31], s[24:25] op_sel_hi:[1,0]
	v_mov_b32_e32 v112, v110
	v_pk_fma_f32 v[92:93], v[28:29], s[8:9], v[90:91] op_sel:[0,0,1] op_sel_hi:[1,0,0] neg_lo:[0,0,1] neg_hi:[0,0,1]
	v_pk_fma_f32 v[90:91], v[28:29], s[8:9], v[90:91] op_sel:[0,0,1] op_sel_hi:[1,0,0]
	v_mov_b32_e32 v94, v92
	v_mov_b32_e32 v95, v91
	v_pk_add_f32 v[78:79], v[94:95], v[78:79]
	v_pk_mul_f32 v[94:95], v[34:35], s[46:47] op_sel_hi:[1,0]
	v_mov_b32_e32 v113, v109
	v_pk_fma_f32 v[96:97], v[32:33], s[30:31], v[94:95] op_sel:[0,0,1] op_sel_hi:[1,0,0] neg_lo:[0,0,1] neg_hi:[0,0,1]
	v_pk_fma_f32 v[94:95], v[32:33], s[30:31], v[94:95] op_sel:[0,0,1] op_sel_hi:[1,0,0]
	v_mov_b32_e32 v98, v96
	v_mov_b32_e32 v99, v95
	v_pk_add_f32 v[78:79], v[98:99], v[78:79]
	v_pk_mul_f32 v[98:99], v[38:39], s[42:43] op_sel_hi:[1,0]
	v_pk_mul_f32 v[50:51], v[50:51], s[38:39] op_sel_hi:[1,0]
	v_pk_fma_f32 v[100:101], v[36:37], s[14:15], v[98:99] op_sel:[0,0,1] op_sel_hi:[1,0,0] neg_lo:[0,0,1] neg_hi:[0,0,1]
	v_pk_fma_f32 v[98:99], v[36:37], s[14:15], v[98:99] op_sel:[0,0,1] op_sel_hi:[1,0,0]
	v_mov_b32_e32 v102, v100
	v_mov_b32_e32 v103, v99
	v_pk_add_f32 v[78:79], v[102:103], v[78:79]
	v_pk_mul_f32 v[102:103], v[54:55], s[28:29] op_sel_hi:[1,0]
	v_pk_mul_f32 v[54:55], v[54:55], s[34:35] op_sel_hi:[1,0]
	v_pk_fma_f32 v[104:105], v[52:53], s[26:27], v[102:103] op_sel:[0,0,1] op_sel_hi:[1,0,0] neg_lo:[0,0,1] neg_hi:[0,0,1]
	v_pk_fma_f32 v[102:103], v[52:53], s[26:27], v[102:103] op_sel:[0,0,1] op_sel_hi:[1,0,0]
	v_mov_b32_e32 v106, v104
	v_mov_b32_e32 v107, v103
	v_pk_add_f32 v[106:107], v[106:107], v[0:1]
	v_mov_b32_e32 v103, v105
	v_pk_add_f32 v[106:107], v[112:113], v[106:107]
	v_pk_mul_f32 v[112:113], v[44:45], s[18:19] op_sel_hi:[1,0]
	v_pk_mul_f32 v[44:45], v[44:45], s[28:29] op_sel_hi:[1,0]
	v_pk_fma_f32 v[114:115], v[26:27], s[14:15], v[112:113] op_sel:[0,0,1] op_sel_hi:[1,0,0] neg_lo:[0,0,1] neg_hi:[0,0,1]
	v_pk_fma_f32 v[112:113], v[26:27], s[14:15], v[112:113] op_sel:[0,0,1] op_sel_hi:[1,0,0]
	v_mov_b32_e32 v116, v114
	v_mov_b32_e32 v117, v113
	v_pk_add_f32 v[106:107], v[116:117], v[106:107]
	v_pk_mul_f32 v[116:117], v[30:31], s[46:47] op_sel_hi:[1,0]
	v_pk_mul_f32 v[30:31], v[30:31], s[42:43] op_sel_hi:[1,0]
	v_pk_fma_f32 v[118:119], v[28:29], s[30:31], v[116:117] op_sel:[0,0,1] op_sel_hi:[1,0,0] neg_lo:[0,0,1] neg_hi:[0,0,1]
	v_pk_fma_f32 v[116:117], v[28:29], s[30:31], v[116:117] op_sel:[0,0,1] op_sel_hi:[1,0,0]
	v_mov_b32_e32 v120, v118
	;; [unrolled: 7-line block ×3, first 2 shown]
	v_mov_b32_e32 v125, v121
	v_pk_add_f32 v[106:107], v[124:125], v[106:107]
	v_pk_mul_f32 v[124:125], v[38:39], s[22:23] op_sel_hi:[1,0]
	v_mov_b32_e32 v41, v57
	v_pk_fma_f32 v[126:127], v[36:37], s[20:21], v[124:125] op_sel:[0,0,1] op_sel_hi:[1,0,0] neg_lo:[0,0,1] neg_hi:[0,0,1]
	v_pk_fma_f32 v[124:125], v[36:37], s[20:21], v[124:125] op_sel:[0,0,1] op_sel_hi:[1,0,0]
	v_mov_b32_e32 v128, v126
	v_mov_b32_e32 v129, v125
	v_pk_add_f32 v[106:107], v[128:129], v[106:107]
	ds_write2_b64 v89, v[78:79], v[106:107] offset0:4 offset1:5
	v_pk_fma_f32 v[78:79], v[52:53], s[30:31], v[54:55] op_sel:[0,0,1] op_sel_hi:[1,0,0] neg_lo:[0,0,1] neg_hi:[0,0,1]
	v_pk_fma_f32 v[52:53], v[52:53], s[30:31], v[54:55] op_sel:[0,0,1] op_sel_hi:[1,0,0]
	v_mov_b32_e32 v54, v78
	v_mov_b32_e32 v55, v53
	v_pk_fma_f32 v[106:107], v[48:49], s[16:17], v[50:51] op_sel:[0,0,1] op_sel_hi:[1,0,0] neg_lo:[0,0,1] neg_hi:[0,0,1]
	v_pk_fma_f32 v[48:49], v[48:49], s[16:17], v[50:51] op_sel:[0,0,1] op_sel_hi:[1,0,0]
	v_pk_add_f32 v[54:55], v[54:55], v[0:1]
	v_mov_b32_e32 v50, v106
	v_mov_b32_e32 v51, v49
	v_pk_add_f32 v[50:51], v[50:51], v[54:55]
	v_pk_fma_f32 v[54:55], v[26:27], s[26:27], v[44:45] op_sel:[0,0,1] op_sel_hi:[1,0,0] neg_lo:[0,0,1] neg_hi:[0,0,1]
	v_pk_fma_f32 v[26:27], v[26:27], s[26:27], v[44:45] op_sel:[0,0,1] op_sel_hi:[1,0,0]
	v_mov_b32_e32 v44, v54
	v_mov_b32_e32 v45, v27
	v_pk_add_f32 v[44:45], v[44:45], v[50:51]
	v_pk_fma_f32 v[50:51], v[28:29], s[14:15], v[30:31] op_sel:[0,0,1] op_sel_hi:[1,0,0] neg_lo:[0,0,1] neg_hi:[0,0,1]
	v_pk_fma_f32 v[28:29], v[28:29], s[14:15], v[30:31] op_sel:[0,0,1] op_sel_hi:[1,0,0]
	;; [unrolled: 5-line block ×3, first 2 shown]
	v_mov_b32_e32 v34, v44
	v_mov_b32_e32 v35, v33
	v_pk_add_f32 v[30:31], v[34:35], v[30:31]
	v_pk_mul_f32 v[34:35], v[38:39], s[36:37] op_sel_hi:[1,0]
	v_mov_b32_e32 v53, v79
	v_pk_fma_f32 v[38:39], v[36:37], s[8:9], v[34:35] op_sel:[0,0,1] op_sel_hi:[1,0,0] neg_lo:[0,0,1] neg_hi:[0,0,1]
	v_pk_fma_f32 v[34:35], v[36:37], s[8:9], v[34:35] op_sel:[0,0,1] op_sel_hi:[1,0,0]
	v_mov_b32_e32 v36, v38
	v_mov_b32_e32 v37, v35
	v_pk_add_f32 v[30:31], v[36:37], v[30:31]
	v_pk_add_f32 v[36:37], v[52:53], v[0:1]
	v_mov_b32_e32 v49, v107
	v_pk_add_f32 v[36:37], v[48:49], v[36:37]
	v_mov_b32_e32 v27, v55
	v_pk_add_f32 v[26:27], v[26:27], v[36:37]
	v_mov_b32_e32 v29, v51
	v_pk_add_f32 v[26:27], v[28:29], v[26:27]
	v_mov_b32_e32 v33, v45
	v_pk_add_f32 v[26:27], v[32:33], v[26:27]
	v_mov_b32_e32 v35, v39
	v_pk_add_f32 v[26:27], v[34:35], v[26:27]
	ds_write2_b64 v89, v[30:31], v[26:27] offset0:6 offset1:7
	v_pk_add_f32 v[26:27], v[102:103], v[0:1]
	v_mov_b32_e32 v109, v111
	v_pk_add_f32 v[28:29], v[40:41], v[0:1]
	v_mov_b32_e32 v81, v83
	;; [unrolled: 2-line block ×10, first 2 shown]
	v_pk_add_f32 v[26:27], v[124:125], v[26:27]
	v_pk_add_f32 v[28:29], v[98:99], v[28:29]
	v_mov_b32_e32 v43, v47
	v_mov_b32_e32 v5, v3
	ds_write2_b64 v89, v[26:27], v[28:29] offset0:8 offset1:9
	v_pk_add_f32 v[26:27], v[42:43], v[0:1]
	v_mov_b32_e32 v59, v61
	v_pk_add_f32 v[0:1], v[4:5], v[0:1]
	v_mov_b32_e32 v9, v7
	;; [unrolled: 2-line block ×10, first 2 shown]
	v_pk_add_f32 v[26:27], v[74:75], v[26:27]
	v_pk_add_f32 v[0:1], v[24:25], v[0:1]
	ds_write2_b64 v89, v[26:27], v[0:1] offset0:10 offset1:11
	ds_write_b64 v89, a[42:43] offset:96
.LBB0_7:
	s_or_b64 exec, exec, s[44:45]
	s_mov_b64 s[8:9], 0x104
	v_lshl_add_u64 v[68:69], v[226:227], 0, s[8:9]
	s_movk_i32 s16, 0x4ec5
	v_mul_u32_u24_sdwa v0, v68, s16 dst_sel:DWORD dst_unused:UNUSED_PAD src0_sel:WORD_0 src1_sel:DWORD
	v_lshrrev_b32_e32 v6, 18, v0
	v_mul_lo_u16_e32 v0, 13, v6
	v_sub_u16_e32 v7, v68, v0
	v_lshlrev_b16_e32 v0, 2, v7
	v_lshlrev_b32_e32 v0, 3, v0
	s_waitcnt lgkmcnt(0)
	s_barrier
	global_load_dwordx4 v[12:15], v0, s[0:1]
	global_load_dwordx4 v[200:203], v0, s[0:1] offset:16
	s_mov_b64 s[14:15], 0xc3
	v_lshl_add_u64 v[76:77], v[226:227], 0, s[14:15]
	v_mul_u32_u24_sdwa v0, v76, s16 dst_sel:DWORD dst_unused:UNUSED_PAD src0_sel:WORD_0 src1_sel:DWORD
	v_lshrrev_b32_e32 v9, 18, v0
	v_mul_lo_u16_e32 v0, 13, v9
	v_sub_u16_e32 v10, v76, v0
	v_lshlrev_b16_e32 v0, 2, v10
	v_lshlrev_b32_e32 v0, 3, v0
	global_load_dwordx4 v[56:59], v0, s[0:1] offset:16
	global_load_dwordx4 v[80:83], v0, s[0:1]
	s_mov_b64 s[8:9], 0x82
	s_movk_i32 s17, 0x4f
	v_lshl_add_u64 v[90:91], v[226:227], 0, s[8:9]
	v_mul_lo_u16_sdwa v11, v226, s17 dst_sel:DWORD dst_unused:UNUSED_PAD src0_sel:BYTE_0 src1_sel:DWORD
	v_mul_lo_u16_sdwa v16, v88, s17 dst_sel:DWORD dst_unused:UNUSED_PAD src0_sel:BYTE_0 src1_sel:DWORD
	;; [unrolled: 1-line block ×3, first 2 shown]
	v_lshrrev_b16_e32 v11, 10, v11
	v_lshrrev_b16_e32 v16, 10, v16
	v_lshrrev_b16_e32 v17, 10, v17
	v_mul_lo_u16_e32 v18, 13, v11
	v_mul_lo_u16_e32 v19, 13, v16
	;; [unrolled: 1-line block ×3, first 2 shown]
	v_mov_b32_e32 v8, 5
	v_sub_u16_e32 v18, v226, v18
	v_sub_u16_e32 v19, v88, v19
	;; [unrolled: 1-line block ×3, first 2 shown]
	v_add_u32_e32 v138, 0x800, v198
	v_lshlrev_b32_sdwa v21, v8, v18 dst_sel:DWORD dst_unused:UNUSED_PAD src0_sel:DWORD src1_sel:BYTE_0
	v_lshlrev_b32_sdwa v22, v8, v19 dst_sel:DWORD dst_unused:UNUSED_PAD src0_sel:DWORD src1_sel:BYTE_0
	;; [unrolled: 1-line block ×3, first 2 shown]
	v_add_u32_e32 v139, 0x1000, v198
	v_add_u32_e32 v116, 0x1800, v198
	;; [unrolled: 1-line block ×3, first 2 shown]
	ds_read_b64 v[4:5], v198 offset:12480
	ds_read2_b64 v[0:3], v138 offset0:4 offset1:69
	ds_read2_b64 v[64:67], v139 offset0:8 offset1:73
	;; [unrolled: 1-line block ×4, first 2 shown]
	global_load_dwordx4 v[28:31], v21, s[0:1] offset:16
	global_load_dwordx4 v[24:27], v21, s[0:1]
	global_load_dwordx4 v[32:35], v22, s[0:1] offset:16
	global_load_dwordx4 v[48:51], v22, s[0:1]
	;; [unrolled: 2-line block ×3, first 2 shown]
	s_movk_i32 s18, 0x41
	v_mul_u32_u24_e32 v11, 0x41, v11
	v_mul_u32_u24_e32 v16, 0x41, v16
	v_mad_legacy_u16 v6, v6, s18, v7
	v_mul_u32_u24_e32 v17, 0x41, v17
	v_add_u32_sdwa v11, v11, v18 dst_sel:DWORD dst_unused:UNUSED_PAD src0_sel:DWORD src1_sel:BYTE_0
	v_add_u32_sdwa v16, v16, v19 dst_sel:DWORD dst_unused:UNUSED_PAD src0_sel:DWORD src1_sel:BYTE_0
	v_lshl_add_u32 v227, v6, 3, v199
	v_lshl_add_u32 v69, v11, 3, v199
	;; [unrolled: 1-line block ×3, first 2 shown]
	v_add_u32_sdwa v8, v17, v20 dst_sel:DWORD dst_unused:UNUSED_PAD src0_sel:DWORD src1_sel:BYTE_0
	s_mov_b32 s16, 0x3f737871
	s_mov_b32 s14, 0x3f167918
	;; [unrolled: 1-line block ×3, first 2 shown]
	v_add_u32_e32 v141, 0x2800, v198
	v_mad_legacy_u16 v9, v9, s18, v10
	v_lshl_add_u32 v10, v8, 3, v199
	v_lshl_add_u32 v8, v9, 3, v199
	v_accvgpr_write_b32 a13, v8
	v_accvgpr_write_b32 a32, v10
	;; [unrolled: 1-line block ×4, first 2 shown]
	s_waitcnt vmcnt(9) lgkmcnt(2)
	v_pk_mul_f32 v[6:7], v[66:67], v[12:13] op_sel:[0,1]
	v_mov_b32_e32 v18, v15
	s_waitcnt vmcnt(8) lgkmcnt(0)
	v_pk_mul_f32 v[20:21], v[94:95], v[200:201] op_sel:[0,1]
	v_mov_b32_e32 v22, v203
	v_pk_fma_f32 v[16:17], v[66:67], v[12:13], v[6:7] op_sel:[0,0,1] op_sel_hi:[1,1,0] neg_lo:[0,0,1] neg_hi:[0,0,1]
	v_pk_fma_f32 v[6:7], v[66:67], v[12:13], v[6:7] op_sel:[0,0,1] op_sel_hi:[1,0,0]
	v_pk_mul_f32 v[36:37], v[84:85], v[18:19] op_sel_hi:[1,0]
	v_pk_fma_f32 v[18:19], v[94:95], v[200:201], v[20:21] op_sel:[0,0,1] op_sel_hi:[1,1,0] neg_lo:[0,0,1] neg_hi:[0,0,1]
	v_pk_fma_f32 v[38:39], v[94:95], v[200:201], v[20:21] op_sel:[0,0,1] op_sel_hi:[1,0,0]
	v_pk_mul_f32 v[40:41], v[4:5], v[22:23] op_sel_hi:[1,0]
	v_mov_b32_e32 v17, v7
	v_pk_fma_f32 v[20:21], v[84:85], v[14:15], v[36:37] op_sel:[0,0,1] op_sel_hi:[1,1,0] neg_lo:[0,0,1] neg_hi:[0,0,1]
	v_pk_fma_f32 v[6:7], v[84:85], v[14:15], v[36:37] op_sel:[0,0,1] op_sel_hi:[1,0,0]
	v_mov_b32_e32 v19, v39
	v_pk_fma_f32 v[22:23], v[4:5], v[202:203], v[40:41] op_sel:[0,0,1] op_sel_hi:[1,1,0] neg_lo:[0,0,1] neg_hi:[0,0,1]
	v_pk_fma_f32 v[4:5], v[4:5], v[202:203], v[40:41] op_sel:[0,0,1] op_sel_hi:[1,0,0]
	v_mov_b32_e32 v21, v7
	v_mov_b32_e32 v23, v5
	v_pk_add_f32 v[4:5], v[20:21], v[18:19]
	v_pk_add_f32 v[36:37], v[16:17], v[22:23] neg_lo:[0,1] neg_hi:[0,1]
	v_pk_fma_f32 v[4:5], v[4:5], 0.5, v[0:1] op_sel_hi:[1,0,1] neg_lo:[1,0,0] neg_hi:[1,0,0]
	v_pk_add_f32 v[6:7], v[16:17], v[20:21] neg_lo:[0,1] neg_hi:[0,1]
	v_pk_add_f32 v[40:41], v[22:23], v[18:19] neg_lo:[0,1] neg_hi:[0,1]
	;; [unrolled: 1-line block ×3, first 2 shown]
	v_pk_add_f32 v[42:43], v[6:7], v[40:41]
	v_pk_fma_f32 v[6:7], v[36:37], s[16:17], v[4:5] op_sel:[1,0,0] op_sel_hi:[0,0,1] neg_lo:[1,0,0] neg_hi:[1,0,0]
	v_pk_fma_f32 v[4:5], v[36:37], s[16:17], v[4:5] op_sel:[1,0,0] op_sel_hi:[0,0,1]
	v_pk_fma_f32 v[44:45], v[38:39], s[14:15], v[4:5] op_sel:[1,0,0] op_sel_hi:[0,0,1]
	v_pk_fma_f32 v[46:47], v[38:39], s[14:15], v[6:7] op_sel:[1,0,0] op_sel_hi:[0,0,1] neg_lo:[1,0,0] neg_hi:[1,0,0]
	v_mov_b32_e32 v4, v46
	v_mov_b32_e32 v5, v45
	v_pk_fma_f32 v[40:41], v[42:43], s[8:9], v[4:5] op_sel_hi:[1,0,1]
	ds_read2_b64 v[4:7], v198 offset0:130 offset1:195
	ds_read2_b64 v[94:97], v116 offset0:12 offset1:77
	;; [unrolled: 1-line block ×3, first 2 shown]
	s_waitcnt vmcnt(6)
	v_pk_mul_f32 v[54:55], v[64:65], v[80:81] op_sel:[0,1]
	v_mov_b32_e32 v46, v83
	v_pk_fma_f32 v[52:53], v[64:65], v[80:81], v[54:55] op_sel:[0,0,1] op_sel_hi:[1,1,0] neg_lo:[0,0,1] neg_hi:[0,0,1]
	v_pk_fma_f32 v[54:55], v[64:65], v[80:81], v[54:55] op_sel:[0,0,1] op_sel_hi:[1,0,0]
	s_waitcnt lgkmcnt(1)
	v_pk_mul_f32 v[64:65], v[96:97], v[46:47] op_sel_hi:[1,0]
	v_mov_b32_e32 v53, v55
	v_pk_fma_f32 v[54:55], v[96:97], v[82:83], v[64:65] op_sel:[0,0,1] op_sel_hi:[1,1,0] neg_lo:[0,0,1] neg_hi:[0,0,1]
	v_pk_fma_f32 v[64:65], v[96:97], v[82:83], v[64:65] op_sel:[0,0,1] op_sel_hi:[1,0,0]
	v_pk_mul_f32 v[66:67], v[92:93], v[56:57] op_sel:[0,1]
	v_mov_b32_e32 v55, v65
	v_pk_fma_f32 v[64:65], v[92:93], v[56:57], v[66:67] op_sel:[0,0,1] op_sel_hi:[1,1,0] neg_lo:[0,0,1] neg_hi:[0,0,1]
	v_pk_fma_f32 v[66:67], v[92:93], v[56:57], v[66:67] op_sel:[0,0,1] op_sel_hi:[1,0,0]
	v_mov_b32_e32 v46, v59
	v_mov_b32_e32 v65, v67
	s_waitcnt lgkmcnt(0)
	v_pk_mul_f32 v[66:67], v[100:101], v[46:47] op_sel_hi:[1,0]
	v_pk_add_f32 v[92:93], v[52:53], v[54:55] neg_lo:[0,1] neg_hi:[0,1]
	v_pk_fma_f32 v[70:71], v[100:101], v[58:59], v[66:67] op_sel:[0,0,1] op_sel_hi:[1,1,0] neg_lo:[0,0,1] neg_hi:[0,0,1]
	v_pk_fma_f32 v[66:67], v[100:101], v[58:59], v[66:67] op_sel:[0,0,1] op_sel_hi:[1,0,0]
	ds_read2_b64 v[100:103], v138 offset0:134 offset1:199
	v_mov_b32_e32 v71, v67
	v_pk_add_f32 v[66:67], v[54:55], v[64:65]
	v_pk_add_f32 v[78:79], v[52:53], v[70:71] neg_lo:[0,1] neg_hi:[0,1]
	v_pk_fma_f32 v[66:67], v[66:67], 0.5, v[6:7] op_sel_hi:[1,0,1] neg_lo:[1,0,0] neg_hi:[1,0,0]
	v_pk_add_f32 v[96:97], v[70:71], v[64:65] neg_lo:[0,1] neg_hi:[0,1]
	v_pk_add_f32 v[84:85], v[54:55], v[64:65] neg_lo:[0,1] neg_hi:[0,1]
	v_pk_add_f32 v[110:111], v[92:93], v[96:97]
	v_pk_fma_f32 v[92:93], v[78:79], s[16:17], v[66:67] op_sel:[1,0,0] op_sel_hi:[0,0,1] neg_lo:[1,0,0] neg_hi:[1,0,0]
	v_pk_fma_f32 v[66:67], v[78:79], s[16:17], v[66:67] op_sel:[1,0,0] op_sel_hi:[0,0,1]
	v_pk_fma_f32 v[66:67], v[84:85], s[14:15], v[66:67] op_sel:[1,0,0] op_sel_hi:[0,0,1]
	v_pk_fma_f32 v[112:113], v[84:85], s[14:15], v[92:93] op_sel:[1,0,0] op_sel_hi:[0,0,1] neg_lo:[1,0,0] neg_hi:[1,0,0]
	v_mov_b32_e32 v92, v112
	v_mov_b32_e32 v93, v67
	ds_read2_b64 v[104:107], v140 offset0:16 offset1:81
	v_pk_fma_f32 v[114:115], v[110:111], s[8:9], v[92:93] op_sel_hi:[1,0,1]
	s_waitcnt vmcnt(0) lgkmcnt(1)
	v_pk_mul_f32 v[92:93], v[102:103], v[72:73] op_sel:[0,1]
	v_mov_b32_e32 v46, v75
	v_pk_fma_f32 v[118:119], v[102:103], v[72:73], v[92:93] op_sel:[0,0,1] op_sel_hi:[1,1,0] neg_lo:[0,0,1] neg_hi:[0,0,1]
	v_pk_fma_f32 v[92:93], v[102:103], v[72:73], v[92:93] op_sel:[0,0,1] op_sel_hi:[1,0,0]
	v_pk_mul_f32 v[126:127], v[100:101], v[48:49] op_sel:[0,1]
	v_mov_b32_e32 v119, v93
	v_pk_mul_f32 v[92:93], v[94:95], v[46:47] op_sel_hi:[1,0]
	v_mov_b32_e32 v46, v63
	v_pk_fma_f32 v[102:103], v[94:95], v[74:75], v[92:93] op_sel:[0,0,1] op_sel_hi:[1,1,0] neg_lo:[0,0,1] neg_hi:[0,0,1]
	v_pk_fma_f32 v[92:93], v[94:95], v[74:75], v[92:93] op_sel:[0,0,1] op_sel_hi:[1,0,0]
	v_pk_fma_f32 v[128:129], v[100:101], v[48:49], v[126:127] op_sel:[0,0,1] op_sel_hi:[1,1,0] neg_lo:[0,0,1] neg_hi:[0,0,1]
	v_mov_b32_e32 v103, v93
	s_waitcnt lgkmcnt(0)
	v_pk_mul_f32 v[92:93], v[106:107], v[60:61] op_sel:[0,1]
	v_pk_fma_f32 v[100:101], v[100:101], v[48:49], v[126:127] op_sel:[0,0,1] op_sel_hi:[1,0,0]
	v_pk_fma_f32 v[120:121], v[106:107], v[60:61], v[92:93] op_sel:[0,0,1] op_sel_hi:[1,1,0] neg_lo:[0,0,1] neg_hi:[0,0,1]
	v_pk_fma_f32 v[92:93], v[106:107], v[60:61], v[92:93] op_sel:[0,0,1] op_sel_hi:[1,0,0]
	v_mov_b32_e32 v129, v101
	v_mov_b32_e32 v121, v93
	v_pk_mul_f32 v[92:93], v[98:99], v[46:47] op_sel_hi:[1,0]
	v_mov_b32_e32 v46, v51
	v_pk_fma_f32 v[122:123], v[98:99], v[62:63], v[92:93] op_sel:[0,0,1] op_sel_hi:[1,1,0] neg_lo:[0,0,1] neg_hi:[0,0,1]
	v_pk_fma_f32 v[92:93], v[98:99], v[62:63], v[92:93] op_sel:[0,0,1] op_sel_hi:[1,0,0]
	v_mov_b32_e32 v67, v113
	v_mov_b32_e32 v123, v93
	v_pk_add_f32 v[92:93], v[4:5], v[118:119]
	v_mov_b32_e32 v45, v47
	v_pk_add_f32 v[92:93], v[92:93], v[102:103]
	s_nop 0
	v_pk_add_f32 v[92:93], v[92:93], v[120:121]
	s_nop 0
	v_pk_add_f32 v[124:125], v[92:93], v[122:123]
	ds_read2_b64 v[92:95], v198 offset1:65
	ds_read2_b64 v[96:99], v139 offset0:138 offset1:203
	ds_read2_b64 v[106:109], v141 offset0:20 offset1:85
	s_waitcnt lgkmcnt(0)
	s_barrier
	v_pk_mul_f32 v[100:101], v[98:99], v[46:47] op_sel_hi:[1,0]
	v_mov_b32_e32 v46, v35
	v_pk_fma_f32 v[126:127], v[98:99], v[50:51], v[100:101] op_sel:[0,0,1] op_sel_hi:[1,1,0] neg_lo:[0,0,1] neg_hi:[0,0,1]
	v_pk_fma_f32 v[98:99], v[98:99], v[50:51], v[100:101] op_sel:[0,0,1] op_sel_hi:[1,0,0]
	s_nop 0
	v_mov_b32_e32 v127, v99
	v_pk_mul_f32 v[98:99], v[104:105], v[32:33] op_sel:[0,1]
	s_nop 0
	v_pk_fma_f32 v[100:101], v[104:105], v[32:33], v[98:99] op_sel:[0,0,1] op_sel_hi:[1,1,0] neg_lo:[0,0,1] neg_hi:[0,0,1]
	v_pk_fma_f32 v[98:99], v[104:105], v[32:33], v[98:99] op_sel:[0,0,1] op_sel_hi:[1,0,0]
	s_nop 0
	v_mov_b32_e32 v101, v99
	v_pk_mul_f32 v[98:99], v[108:109], v[46:47] op_sel_hi:[1,0]
	s_nop 0
	v_pk_fma_f32 v[104:105], v[108:109], v[34:35], v[98:99] op_sel:[0,0,1] op_sel_hi:[1,1,0] neg_lo:[0,0,1] neg_hi:[0,0,1]
	v_pk_fma_f32 v[98:99], v[108:109], v[34:35], v[98:99] op_sel:[0,0,1] op_sel_hi:[1,0,0]
	v_pk_mul_f32 v[108:109], v[2:3], v[24:25] op_sel:[0,1]
	v_mov_b32_e32 v105, v99
	v_pk_fma_f32 v[130:131], v[2:3], v[24:25], v[108:109] op_sel:[0,0,1] op_sel_hi:[1,1,0] neg_lo:[0,0,1] neg_hi:[0,0,1]
	v_pk_fma_f32 v[2:3], v[2:3], v[24:25], v[108:109] op_sel:[0,0,1] op_sel_hi:[1,0,0]
	v_pk_add_f32 v[98:99], v[94:95], v[128:129]
	v_mov_b32_e32 v2, v27
	v_mov_b32_e32 v131, v3
	v_pk_mul_f32 v[2:3], v[96:97], v[2:3] op_sel_hi:[1,0]
	v_pk_add_f32 v[98:99], v[98:99], v[126:127]
	v_pk_fma_f32 v[108:109], v[96:97], v[26:27], v[2:3] op_sel:[0,0,1] op_sel_hi:[1,1,0] neg_lo:[0,0,1] neg_hi:[0,0,1]
	v_pk_fma_f32 v[2:3], v[96:97], v[26:27], v[2:3] op_sel:[0,0,1] op_sel_hi:[1,0,0]
	v_pk_add_f32 v[98:99], v[98:99], v[100:101]
	v_mov_b32_e32 v109, v3
	v_pk_mul_f32 v[2:3], v[86:87], v[28:29] op_sel:[0,1]
	v_pk_add_f32 v[144:145], v[130:131], v[108:109] neg_lo:[0,1] neg_hi:[0,1]
	v_pk_fma_f32 v[96:97], v[86:87], v[28:29], v[2:3] op_sel:[0,0,1] op_sel_hi:[1,1,0] neg_lo:[0,0,1] neg_hi:[0,0,1]
	v_pk_fma_f32 v[2:3], v[86:87], v[28:29], v[2:3] op_sel:[0,0,1] op_sel_hi:[1,0,0]
	v_pk_add_f32 v[98:99], v[98:99], v[104:105]
	v_mov_b32_e32 v2, v31
	v_mov_b32_e32 v97, v3
	v_pk_mul_f32 v[2:3], v[106:107], v[2:3] op_sel_hi:[1,0]
	v_pk_add_f32 v[136:137], v[108:109], v[96:97] neg_lo:[0,1] neg_hi:[0,1]
	v_pk_fma_f32 v[86:87], v[106:107], v[30:31], v[2:3] op_sel:[0,0,1] op_sel_hi:[1,1,0] neg_lo:[0,0,1] neg_hi:[0,0,1]
	v_pk_fma_f32 v[2:3], v[106:107], v[30:31], v[2:3] op_sel:[0,0,1] op_sel_hi:[1,0,0]
	v_pk_add_f32 v[106:107], v[108:109], v[96:97]
	v_mov_b32_e32 v87, v3
	v_pk_add_f32 v[132:133], v[130:131], v[86:87] neg_lo:[0,1] neg_hi:[0,1]
	v_pk_fma_f32 v[106:107], v[106:107], 0.5, v[92:93] op_sel_hi:[1,0,1] neg_lo:[1,0,0] neg_hi:[1,0,0]
	v_pk_mul_f32 v[134:135], v[132:133], s[16:17] op_sel_hi:[1,0]
	v_pk_add_f32 v[146:147], v[86:87], v[96:97] neg_lo:[0,1] neg_hi:[0,1]
	v_pk_add_f32 v[2:3], v[92:93], v[130:131]
	v_pk_mul_f32 v[142:143], v[136:137], s[14:15] op_sel_hi:[1,0]
	v_pk_add_f32 v[144:145], v[144:145], v[146:147]
	v_pk_add_f32 v[146:147], v[106:107], v[134:135] op_sel:[0,1] op_sel_hi:[1,0]
	v_pk_add_f32 v[106:107], v[106:107], v[134:135] op_sel:[0,1] op_sel_hi:[1,0] neg_lo:[0,1] neg_hi:[0,1]
	v_pk_add_f32 v[2:3], v[2:3], v[108:109]
	v_pk_add_f32 v[106:107], v[106:107], v[142:143] op_sel:[0,1] op_sel_hi:[1,0] neg_lo:[0,1] neg_hi:[0,1]
	v_pk_add_f32 v[134:135], v[146:147], v[142:143] op_sel:[0,1] op_sel_hi:[1,0]
	v_pk_add_f32 v[2:3], v[2:3], v[96:97]
	v_mov_b32_e32 v142, v134
	v_mov_b32_e32 v143, v107
	v_pk_add_f32 v[2:3], v[2:3], v[86:87]
	v_pk_fma_f32 v[142:143], v[144:145], s[8:9], v[142:143] op_sel_hi:[1,0,1]
	ds_write2_b64 v69, v[2:3], v[142:143] offset1:13
	v_pk_add_f32 v[2:3], v[130:131], v[86:87]
	v_pk_add_f32 v[86:87], v[96:97], v[86:87] neg_lo:[0,1] neg_hi:[0,1]
	v_pk_fma_f32 v[2:3], v[2:3], 0.5, v[92:93] op_sel_hi:[1,0,1] neg_lo:[1,0,0] neg_hi:[1,0,0]
	v_pk_add_f32 v[92:93], v[108:109], v[130:131] neg_lo:[0,1] neg_hi:[0,1]
	v_pk_mul_f32 v[96:97], v[132:133], s[14:15] op_sel_hi:[1,0]
	v_pk_add_f32 v[86:87], v[92:93], v[86:87]
	v_pk_mul_f32 v[92:93], v[136:137], s[16:17] op_sel_hi:[1,0]
	v_mov_b32_e32 v107, v135
	v_pk_add_f32 v[108:109], v[2:3], v[92:93] op_sel:[0,1] op_sel_hi:[1,0] neg_lo:[0,1] neg_hi:[0,1]
	v_pk_add_f32 v[2:3], v[2:3], v[92:93] op_sel:[0,1] op_sel_hi:[1,0]
	v_pk_add_f32 v[92:93], v[108:109], v[96:97] op_sel:[0,1] op_sel_hi:[1,0]
	v_pk_add_f32 v[2:3], v[2:3], v[96:97] op_sel:[0,1] op_sel_hi:[1,0] neg_lo:[0,1] neg_hi:[0,1]
	v_mov_b32_e32 v96, v92
	v_mov_b32_e32 v97, v3
	;; [unrolled: 1-line block ×3, first 2 shown]
	v_pk_fma_f32 v[96:97], v[86:87], s[8:9], v[96:97] op_sel_hi:[1,0,1]
	v_pk_fma_f32 v[2:3], v[86:87], s[8:9], v[2:3] op_sel_hi:[1,0,1]
	ds_write2_b64 v69, v[96:97], v[2:3] offset0:26 offset1:39
	v_pk_fma_f32 v[2:3], v[144:145], s[8:9], v[106:107] op_sel_hi:[1,0,1]
	ds_write_b64 v69, v[2:3] offset:416
	v_pk_add_f32 v[2:3], v[126:127], v[100:101]
	v_pk_add_f32 v[86:87], v[128:129], v[104:105] neg_lo:[0,1] neg_hi:[0,1]
	v_pk_fma_f32 v[2:3], v[2:3], 0.5, v[94:95] op_sel_hi:[1,0,1] neg_lo:[1,0,0] neg_hi:[1,0,0]
	v_pk_mul_f32 v[92:93], v[86:87], s[16:17] op_sel_hi:[1,0]
	v_pk_add_f32 v[96:97], v[126:127], v[100:101] neg_lo:[0,1] neg_hi:[0,1]
	v_pk_add_f32 v[108:109], v[128:129], v[126:127] neg_lo:[0,1] neg_hi:[0,1]
	;; [unrolled: 1-line block ×3, first 2 shown]
	v_pk_mul_f32 v[106:107], v[96:97], s[14:15] op_sel_hi:[1,0]
	v_pk_add_f32 v[108:109], v[108:109], v[130:131]
	v_pk_add_f32 v[130:131], v[2:3], v[92:93] op_sel:[0,1] op_sel_hi:[1,0]
	v_pk_add_f32 v[2:3], v[2:3], v[92:93] op_sel:[0,1] op_sel_hi:[1,0] neg_lo:[0,1] neg_hi:[0,1]
	v_pk_add_f32 v[92:93], v[130:131], v[106:107] op_sel:[0,1] op_sel_hi:[1,0]
	v_pk_add_f32 v[2:3], v[2:3], v[106:107] op_sel:[0,1] op_sel_hi:[1,0] neg_lo:[0,1] neg_hi:[0,1]
	v_mov_b32_e32 v106, v92
	v_mov_b32_e32 v107, v3
	v_pk_fma_f32 v[106:107], v[108:109], s[8:9], v[106:107] op_sel_hi:[1,0,1]
	ds_write2_b64 v11, v[98:99], v[106:107] offset1:13
	v_pk_add_f32 v[98:99], v[128:129], v[104:105]
	v_pk_add_f32 v[100:101], v[100:101], v[104:105] neg_lo:[0,1] neg_hi:[0,1]
	v_pk_fma_f32 v[94:95], v[98:99], 0.5, v[94:95] op_sel_hi:[1,0,1] neg_lo:[1,0,0] neg_hi:[1,0,0]
	v_pk_add_f32 v[98:99], v[126:127], v[128:129] neg_lo:[0,1] neg_hi:[0,1]
	v_pk_mul_f32 v[96:97], v[96:97], s[16:17] op_sel_hi:[1,0]
	v_pk_add_f32 v[98:99], v[98:99], v[100:101]
	v_pk_mul_f32 v[86:87], v[86:87], s[14:15] op_sel_hi:[1,0]
	v_pk_add_f32 v[100:101], v[94:95], v[96:97] op_sel:[0,1] op_sel_hi:[1,0] neg_lo:[0,1] neg_hi:[0,1]
	v_pk_add_f32 v[94:95], v[94:95], v[96:97] op_sel:[0,1] op_sel_hi:[1,0]
	v_mov_b32_e32 v3, v93
	v_pk_add_f32 v[94:95], v[94:95], v[86:87] op_sel:[0,1] op_sel_hi:[1,0] neg_lo:[0,1] neg_hi:[0,1]
	v_pk_add_f32 v[86:87], v[100:101], v[86:87] op_sel:[0,1] op_sel_hi:[1,0]
	v_mov_b32_e32 v97, v95
	v_mov_b32_e32 v96, v86
	;; [unrolled: 1-line block ×3, first 2 shown]
	v_pk_fma_f32 v[96:97], v[98:99], s[8:9], v[96:97] op_sel_hi:[1,0,1]
	v_pk_fma_f32 v[86:87], v[98:99], s[8:9], v[94:95] op_sel_hi:[1,0,1]
	;; [unrolled: 1-line block ×3, first 2 shown]
	ds_write2_b64 v11, v[96:97], v[86:87] offset0:26 offset1:39
	ds_write_b64 v11, v[2:3] offset:416
	v_pk_add_f32 v[2:3], v[102:103], v[120:121]
	v_pk_add_f32 v[86:87], v[118:119], v[122:123] neg_lo:[0,1] neg_hi:[0,1]
	v_pk_fma_f32 v[2:3], v[2:3], 0.5, v[4:5] op_sel_hi:[1,0,1] neg_lo:[1,0,0] neg_hi:[1,0,0]
	v_pk_mul_f32 v[92:93], v[86:87], s[16:17] op_sel_hi:[1,0]
	v_pk_add_f32 v[94:95], v[102:103], v[120:121] neg_lo:[0,1] neg_hi:[0,1]
	v_pk_add_f32 v[98:99], v[118:119], v[102:103] neg_lo:[0,1] neg_hi:[0,1]
	;; [unrolled: 1-line block ×3, first 2 shown]
	v_pk_mul_f32 v[96:97], v[94:95], s[14:15] op_sel_hi:[1,0]
	v_pk_add_f32 v[98:99], v[98:99], v[100:101]
	v_pk_add_f32 v[100:101], v[2:3], v[92:93] op_sel:[0,1] op_sel_hi:[1,0]
	v_pk_add_f32 v[2:3], v[2:3], v[92:93] op_sel:[0,1] op_sel_hi:[1,0] neg_lo:[0,1] neg_hi:[0,1]
	v_pk_add_f32 v[92:93], v[100:101], v[96:97] op_sel:[0,1] op_sel_hi:[1,0]
	v_pk_add_f32 v[2:3], v[2:3], v[96:97] op_sel:[0,1] op_sel_hi:[1,0] neg_lo:[0,1] neg_hi:[0,1]
	v_mov_b32_e32 v96, v92
	v_mov_b32_e32 v97, v3
	v_pk_fma_f32 v[96:97], v[98:99], s[8:9], v[96:97] op_sel_hi:[1,0,1]
	ds_write2_b64 v10, v[124:125], v[96:97] offset1:13
	v_pk_add_f32 v[96:97], v[118:119], v[122:123]
	v_pk_add_f32 v[100:101], v[120:121], v[122:123] neg_lo:[0,1] neg_hi:[0,1]
	v_pk_fma_f32 v[4:5], v[96:97], 0.5, v[4:5] op_sel_hi:[1,0,1] neg_lo:[1,0,0] neg_hi:[1,0,0]
	v_pk_add_f32 v[96:97], v[102:103], v[118:119] neg_lo:[0,1] neg_hi:[0,1]
	v_pk_mul_f32 v[94:95], v[94:95], s[16:17] op_sel_hi:[1,0]
	v_mov_b32_e32 v3, v93
	v_pk_add_f32 v[96:97], v[96:97], v[100:101]
	v_pk_mul_f32 v[86:87], v[86:87], s[14:15] op_sel_hi:[1,0]
	v_pk_add_f32 v[100:101], v[4:5], v[94:95] op_sel:[0,1] op_sel_hi:[1,0] neg_lo:[0,1] neg_hi:[0,1]
	v_pk_add_f32 v[4:5], v[4:5], v[94:95] op_sel:[0,1] op_sel_hi:[1,0]
	v_pk_fma_f32 v[2:3], v[98:99], s[8:9], v[2:3] op_sel_hi:[1,0,1]
	v_pk_add_f32 v[4:5], v[4:5], v[86:87] op_sel:[0,1] op_sel_hi:[1,0] neg_lo:[0,1] neg_hi:[0,1]
	v_pk_add_f32 v[86:87], v[100:101], v[86:87] op_sel:[0,1] op_sel_hi:[1,0]
	ds_write_b64 v10, v[2:3] offset:416
	v_pk_add_f32 v[2:3], v[6:7], v[52:53]
	v_mov_b32_e32 v94, v86
	v_mov_b32_e32 v95, v5
	;; [unrolled: 1-line block ×3, first 2 shown]
	v_pk_add_f32 v[2:3], v[2:3], v[54:55]
	v_pk_fma_f32 v[94:95], v[96:97], s[8:9], v[94:95] op_sel_hi:[1,0,1]
	v_pk_fma_f32 v[4:5], v[96:97], s[8:9], v[4:5] op_sel_hi:[1,0,1]
	v_pk_add_f32 v[2:3], v[2:3], v[64:65]
	ds_write2_b64 v10, v[94:95], v[4:5] offset0:26 offset1:39
	v_pk_add_f32 v[2:3], v[2:3], v[70:71]
	v_pk_fma_f32 v[4:5], v[110:111], s[8:9], v[66:67] op_sel_hi:[1,0,1]
	ds_write2_b64 v8, v[2:3], v[4:5] offset1:13
	v_pk_add_f32 v[2:3], v[52:53], v[70:71]
	v_pk_add_f32 v[4:5], v[54:55], v[52:53] neg_lo:[0,1] neg_hi:[0,1]
	v_pk_fma_f32 v[2:3], v[2:3], 0.5, v[6:7] op_sel_hi:[1,0,1] neg_lo:[1,0,0] neg_hi:[1,0,0]
	v_pk_add_f32 v[6:7], v[64:65], v[70:71] neg_lo:[0,1] neg_hi:[0,1]
	ds_write_b64 v8, v[114:115] offset:416
	v_pk_add_f32 v[4:5], v[4:5], v[6:7]
	v_pk_fma_f32 v[6:7], v[84:85], s[16:17], v[2:3] op_sel:[1,0,0] op_sel_hi:[0,0,1]
	v_pk_fma_f32 v[2:3], v[84:85], s[16:17], v[2:3] op_sel:[1,0,0] op_sel_hi:[0,0,1] neg_lo:[1,0,0] neg_hi:[1,0,0]
	v_pk_fma_f32 v[2:3], v[78:79], s[14:15], v[2:3] op_sel:[1,0,0] op_sel_hi:[0,0,1]
	v_pk_fma_f32 v[6:7], v[78:79], s[14:15], v[6:7] op_sel:[1,0,0] op_sel_hi:[0,0,1] neg_lo:[1,0,0] neg_hi:[1,0,0]
	v_mov_b32_e32 v52, v6
	v_mov_b32_e32 v53, v3
	;; [unrolled: 1-line block ×3, first 2 shown]
	v_pk_fma_f32 v[52:53], v[4:5], s[8:9], v[52:53] op_sel_hi:[1,0,1]
	v_pk_fma_f32 v[2:3], v[4:5], s[8:9], v[2:3] op_sel_hi:[1,0,1]
	ds_write2_b64 v8, v[2:3], v[52:53] offset0:26 offset1:39
	v_pk_add_f32 v[2:3], v[0:1], v[16:17]
	v_pk_fma_f32 v[4:5], v[42:43], s[8:9], v[44:45] op_sel_hi:[1,0,1]
	v_pk_add_f32 v[2:3], v[2:3], v[20:21]
	v_lshlrev_b32_e32 v8, 5, v226
	v_pk_add_f32 v[2:3], v[2:3], v[18:19]
	s_nop 0
	v_pk_add_f32 v[2:3], v[2:3], v[22:23]
	ds_write2_b64 v227, v[2:3], v[4:5] offset1:13
	v_pk_add_f32 v[2:3], v[16:17], v[22:23]
	v_pk_add_f32 v[4:5], v[18:19], v[22:23] neg_lo:[0,1] neg_hi:[0,1]
	v_pk_fma_f32 v[0:1], v[2:3], 0.5, v[0:1] op_sel_hi:[1,0,1] neg_lo:[1,0,0] neg_hi:[1,0,0]
	v_pk_add_f32 v[2:3], v[20:21], v[16:17] neg_lo:[0,1] neg_hi:[0,1]
	v_lshlrev_b32_e32 v16, 3, v226
	v_pk_add_f32 v[2:3], v[2:3], v[4:5]
	v_pk_fma_f32 v[4:5], v[38:39], s[16:17], v[0:1] op_sel:[1,0,0] op_sel_hi:[0,0,1]
	v_pk_fma_f32 v[0:1], v[38:39], s[16:17], v[0:1] op_sel:[1,0,0] op_sel_hi:[0,0,1] neg_lo:[1,0,0] neg_hi:[1,0,0]
	v_pk_fma_f32 v[0:1], v[36:37], s[14:15], v[0:1] op_sel:[1,0,0] op_sel_hi:[0,0,1]
	v_pk_fma_f32 v[4:5], v[36:37], s[14:15], v[4:5] op_sel:[1,0,0] op_sel_hi:[0,0,1] neg_lo:[1,0,0] neg_hi:[1,0,0]
	v_mov_b32_e32 v6, v4
	v_mov_b32_e32 v7, v1
	;; [unrolled: 1-line block ×3, first 2 shown]
	v_pk_fma_f32 v[6:7], v[2:3], s[8:9], v[6:7] op_sel_hi:[1,0,1]
	v_pk_fma_f32 v[0:1], v[2:3], s[8:9], v[0:1] op_sel_hi:[1,0,1]
	ds_write2_b64 v227, v[0:1], v[6:7] offset0:26 offset1:39
	ds_write_b64 v227, v[40:41] offset:416
	s_waitcnt lgkmcnt(0)
	s_barrier
	global_load_dwordx4 v[4:7], v8, s[0:1] offset:416
	global_load_dwordx4 v[0:3], v8, s[0:1] offset:432
	s_movk_i32 s9, 0xfc1
	v_mul_u32_u24_sdwa v9, v76, s9 dst_sel:DWORD dst_unused:UNUSED_PAD src0_sel:WORD_0 src1_sel:DWORD
	v_lshrrev_b32_e32 v9, 18, v9
	v_mul_u32_u24_sdwa v10, v68, s9 dst_sel:DWORD dst_unused:UNUSED_PAD src0_sel:WORD_0 src1_sel:DWORD
	v_mul_lo_u16_e32 v9, 0x41, v9
	v_lshrrev_b32_e32 v10, 18, v10
	v_mov_b32_e32 v17, 0
	v_sub_u16_e32 v9, v76, v9
	v_mul_lo_u16_e32 v10, 0x41, v10
	v_lshl_add_u64 v[136:137], s[12:13], 0, v[16:17]
	v_lshlrev_b16_e32 v16, 5, v9
	v_sub_u16_e32 v10, v68, v10
	v_lshl_add_u64 v[40:41], s[0:1], 0, v[16:17]
	v_lshlrev_b16_e32 v16, 5, v10
	v_lshl_add_u64 v[16:17], s[0:1], 0, v[16:17]
	global_load_dwordx4 v[52:55], v[16:17], off offset:416
	global_load_dwordx4 v[44:47], v[16:17], off offset:432
	s_movk_i32 s9, 0xfd
	v_mul_lo_u16_sdwa v11, v90, s9 dst_sel:DWORD dst_unused:UNUSED_PAD src0_sel:BYTE_0 src1_sel:DWORD
	v_lshrrev_b16_e32 v11, 14, v11
	v_mul_lo_u16_e32 v11, 0x41, v11
	v_sub_u16_e32 v11, v90, v11
	v_and_b32_e32 v11, 0xff, v11
	v_lshlrev_b32_e32 v42, 5, v11
	global_load_dwordx4 v[16:19], v42, s[0:1] offset:432
	global_load_dwordx4 v[20:23], v42, s[0:1] offset:416
	global_load_dwordx4 v[36:39], v[40:41], off offset:432
                                        ; kill: killed $vgpr42
	s_nop 0
	global_load_dwordx4 v[40:43], v[40:41], off offset:416
	ds_read2_b64 v[64:67], v138 offset0:4 offset1:69
	ds_read2_b64 v[84:87], v198 offset1:65
	ds_read2_b64 v[92:95], v139 offset0:138 offset1:203
	ds_read2_b64 v[96:99], v116 offset0:142 offset1:207
	ds_read2_b64 v[100:103], v141 offset0:20 offset1:85
	v_lshl_add_u32 v69, v11, 3, v199
	v_lshl_add_u32 v11, v9, 3, v199
	v_add_u32_e32 v9, 0x1000, v69
	v_lshl_add_u32 v10, v10, 3, v199
	v_accvgpr_write_b32 a36, v69
	v_accvgpr_write_b32 a35, v11
	;; [unrolled: 1-line block ×3, first 2 shown]
	s_waitcnt vmcnt(7) lgkmcnt(4)
	v_pk_mul_f32 v[70:71], v[66:67], v[4:5] op_sel:[0,1]
	s_nop 0
	v_pk_fma_f32 v[78:79], v[66:67], v[4:5], v[70:71] op_sel:[0,0,1] op_sel_hi:[1,1,0] neg_lo:[0,0,1] neg_hi:[0,0,1]
	v_pk_fma_f32 v[66:67], v[66:67], v[4:5], v[70:71] op_sel:[0,0,1] op_sel_hi:[1,0,0]
	v_mov_b32_e32 v122, v7
	v_mov_b32_e32 v79, v67
	s_waitcnt lgkmcnt(2)
	v_pk_mul_f32 v[66:67], v[92:93], v[122:123] op_sel_hi:[1,0]
	s_waitcnt vmcnt(6)
	v_mov_b32_e32 v124, v3
	v_pk_fma_f32 v[70:71], v[92:93], v[6:7], v[66:67] op_sel:[0,0,1] op_sel_hi:[1,1,0] neg_lo:[0,0,1] neg_hi:[0,0,1]
	v_pk_fma_f32 v[66:67], v[92:93], v[6:7], v[66:67] op_sel:[0,0,1] op_sel_hi:[1,0,0]
	s_nop 0
	v_mov_b32_e32 v71, v67
	s_waitcnt lgkmcnt(1)
	v_pk_mul_f32 v[66:67], v[98:99], v[0:1] op_sel:[0,1]
	v_pk_add_f32 v[106:107], v[78:79], v[70:71] neg_lo:[0,1] neg_hi:[0,1]
	v_pk_fma_f32 v[92:93], v[98:99], v[0:1], v[66:67] op_sel:[0,0,1] op_sel_hi:[1,1,0] neg_lo:[0,0,1] neg_hi:[0,0,1]
	v_pk_fma_f32 v[66:67], v[98:99], v[0:1], v[66:67] op_sel:[0,0,1] op_sel_hi:[1,0,0]
	s_nop 0
	v_mov_b32_e32 v93, v67
	s_waitcnt lgkmcnt(0)
	v_pk_mul_f32 v[66:67], v[100:101], v[124:125] op_sel_hi:[1,0]
	v_pk_add_f32 v[104:105], v[70:71], v[92:93] neg_lo:[0,1] neg_hi:[0,1]
	v_pk_fma_f32 v[98:99], v[100:101], v[2:3], v[66:67] op_sel:[0,0,1] op_sel_hi:[1,1,0] neg_lo:[0,0,1] neg_hi:[0,0,1]
	v_pk_fma_f32 v[66:67], v[100:101], v[2:3], v[66:67] op_sel:[0,0,1] op_sel_hi:[1,0,0]
	s_nop 0
	v_mov_b32_e32 v99, v67
	v_pk_add_f32 v[66:67], v[70:71], v[92:93]
	v_pk_add_f32 v[100:101], v[78:79], v[98:99] neg_lo:[0,1] neg_hi:[0,1]
	v_pk_fma_f32 v[66:67], v[66:67], 0.5, v[84:85] op_sel_hi:[1,0,1] neg_lo:[1,0,0] neg_hi:[1,0,0]
	v_pk_add_f32 v[108:109], v[98:99], v[92:93] neg_lo:[0,1] neg_hi:[0,1]
	s_nop 0
	v_pk_add_f32 v[106:107], v[106:107], v[108:109]
	v_pk_fma_f32 v[108:109], v[100:101], s[16:17], v[66:67] op_sel:[1,0,0] op_sel_hi:[0,0,1]
	v_pk_fma_f32 v[66:67], v[100:101], s[16:17], v[66:67] op_sel:[1,0,0] op_sel_hi:[0,0,1] neg_lo:[1,0,0] neg_hi:[1,0,0]
	v_pk_fma_f32 v[66:67], v[104:105], s[14:15], v[66:67] op_sel:[1,0,0] op_sel_hi:[0,0,1] neg_lo:[1,0,0] neg_hi:[1,0,0]
	v_pk_fma_f32 v[108:109], v[104:105], s[14:15], v[108:109] op_sel:[1,0,0] op_sel_hi:[0,0,1]
	v_mov_b32_e32 v110, v108
	v_mov_b32_e32 v111, v67
	v_pk_fma_f32 v[126:127], v[106:107], s[8:9], v[110:111] op_sel_hi:[1,0,1]
	v_pk_add_f32 v[110:111], v[84:85], v[78:79]
	v_mov_b32_e32 v67, v109
	v_pk_add_f32 v[110:111], v[110:111], v[70:71]
	v_pk_add_f32 v[70:71], v[70:71], v[78:79] neg_lo:[0,1] neg_hi:[0,1]
	v_pk_add_f32 v[110:111], v[110:111], v[92:93]
	s_nop 0
	v_pk_add_f32 v[128:129], v[110:111], v[98:99]
	v_pk_add_f32 v[110:111], v[78:79], v[98:99]
	v_pk_add_f32 v[78:79], v[92:93], v[98:99] neg_lo:[0,1] neg_hi:[0,1]
	v_pk_fma_f32 v[84:85], v[110:111], 0.5, v[84:85] op_sel_hi:[1,0,1] neg_lo:[1,0,0] neg_hi:[1,0,0]
	v_pk_add_f32 v[70:71], v[70:71], v[78:79]
	v_pk_fma_f32 v[78:79], v[104:105], s[16:17], v[84:85] op_sel:[1,0,0] op_sel_hi:[0,0,1] neg_lo:[1,0,0] neg_hi:[1,0,0]
	v_pk_fma_f32 v[84:85], v[104:105], s[16:17], v[84:85] op_sel:[1,0,0] op_sel_hi:[0,0,1]
	v_pk_fma_f32 v[84:85], v[100:101], s[14:15], v[84:85] op_sel:[1,0,0] op_sel_hi:[0,0,1] neg_lo:[1,0,0] neg_hi:[1,0,0]
	v_pk_fma_f32 v[78:79], v[100:101], s[14:15], v[78:79] op_sel:[1,0,0] op_sel_hi:[0,0,1]
	ds_read2_b64 v[98:101], v139 offset0:8 offset1:73
	v_mov_b32_e32 v92, v78
	v_mov_b32_e32 v93, v85
	;; [unrolled: 1-line block ×3, first 2 shown]
	v_pk_fma_f32 v[92:93], v[70:71], s[8:9], v[92:93] op_sel_hi:[1,0,1]
	v_pk_fma_f32 v[78:79], v[70:71], s[8:9], v[84:85] op_sel_hi:[1,0,1]
	s_waitcnt vmcnt(5) lgkmcnt(0)
	v_pk_mul_f32 v[70:71], v[100:101], v[52:53] op_sel:[0,1]
	v_pk_fma_f32 v[84:85], v[106:107], s[8:9], v[66:67] op_sel_hi:[1,0,1]
	ds_read2_b64 v[104:107], v140 offset0:146 offset1:211
	ds_read_b64 v[108:109], v198 offset:12480
	v_pk_fma_f32 v[66:67], v[100:101], v[52:53], v[70:71] op_sel:[0,0,1] op_sel_hi:[1,1,0] neg_lo:[0,0,1] neg_hi:[0,0,1]
	v_pk_fma_f32 v[70:71], v[100:101], v[52:53], v[70:71] op_sel:[0,0,1] op_sel_hi:[1,0,0]
	s_nop 0
	v_mov_b32_e32 v70, v55
	v_pk_mul_f32 v[100:101], v[96:97], v[70:71] op_sel_hi:[1,0]
	v_mov_b32_e32 v67, v71
	v_pk_fma_f32 v[70:71], v[96:97], v[54:55], v[100:101] op_sel:[0,0,1] op_sel_hi:[1,1,0] neg_lo:[0,0,1] neg_hi:[0,0,1]
	v_pk_fma_f32 v[96:97], v[96:97], v[54:55], v[100:101] op_sel:[0,0,1] op_sel_hi:[1,0,0]
	s_nop 0
	v_mov_b32_e32 v71, v97
	s_waitcnt vmcnt(4) lgkmcnt(1)
	v_pk_mul_f32 v[96:97], v[106:107], v[44:45] op_sel:[0,1]
	s_nop 0
	v_pk_fma_f32 v[100:101], v[106:107], v[44:45], v[96:97] op_sel:[0,0,1] op_sel_hi:[1,1,0] neg_lo:[0,0,1] neg_hi:[0,0,1]
	v_pk_fma_f32 v[96:97], v[106:107], v[44:45], v[96:97] op_sel:[0,0,1] op_sel_hi:[1,0,0]
	v_pk_add_f32 v[106:107], v[66:67], v[70:71] neg_lo:[0,1] neg_hi:[0,1]
	v_mov_b32_e32 v96, v47
	v_mov_b32_e32 v101, v97
	s_waitcnt lgkmcnt(0)
	v_pk_mul_f32 v[96:97], v[108:109], v[96:97] op_sel_hi:[1,0]
	v_pk_add_f32 v[134:135], v[70:71], v[100:101] neg_lo:[0,1] neg_hi:[0,1]
	v_pk_fma_f32 v[130:131], v[108:109], v[46:47], v[96:97] op_sel:[0,0,1] op_sel_hi:[1,1,0] neg_lo:[0,0,1] neg_hi:[0,0,1]
	v_pk_fma_f32 v[96:97], v[108:109], v[46:47], v[96:97] op_sel:[0,0,1] op_sel_hi:[1,0,0]
	s_nop 0
	v_mov_b32_e32 v131, v97
	v_pk_add_f32 v[96:97], v[70:71], v[100:101]
	v_pk_add_f32 v[132:133], v[66:67], v[130:131] neg_lo:[0,1] neg_hi:[0,1]
	v_pk_fma_f32 v[96:97], v[96:97], 0.5, v[64:65] op_sel_hi:[1,0,1] neg_lo:[1,0,0] neg_hi:[1,0,0]
	v_pk_add_f32 v[108:109], v[130:131], v[100:101] neg_lo:[0,1] neg_hi:[0,1]
	s_nop 0
	v_pk_add_f32 v[142:143], v[106:107], v[108:109]
	v_pk_fma_f32 v[106:107], v[132:133], s[16:17], v[96:97] op_sel:[1,0,0] op_sel_hi:[0,0,1] neg_lo:[1,0,0] neg_hi:[1,0,0]
	v_pk_fma_f32 v[96:97], v[132:133], s[16:17], v[96:97] op_sel:[1,0,0] op_sel_hi:[0,0,1]
	v_pk_fma_f32 v[144:145], v[134:135], s[14:15], v[96:97] op_sel:[1,0,0] op_sel_hi:[0,0,1]
	v_pk_fma_f32 v[146:147], v[134:135], s[14:15], v[106:107] op_sel:[1,0,0] op_sel_hi:[0,0,1] neg_lo:[1,0,0] neg_hi:[1,0,0]
	v_mov_b32_e32 v96, v146
	v_mov_b32_e32 v97, v145
	ds_read2_b64 v[106:109], v198 offset0:130 offset1:195
	ds_read2_b64 v[110:113], v116 offset0:12 offset1:77
	;; [unrolled: 1-line block ×3, first 2 shown]
	v_pk_fma_f32 v[148:149], v[142:143], s[8:9], v[96:97] op_sel_hi:[1,0,1]
	s_waitcnt vmcnt(0)
	v_pk_mul_f32 v[96:97], v[98:99], v[40:41] op_sel:[0,1]
	v_mov_b32_e32 v145, v147
	v_pk_fma_f32 v[150:151], v[98:99], v[40:41], v[96:97] op_sel:[0,0,1] op_sel_hi:[1,1,0] neg_lo:[0,0,1] neg_hi:[0,0,1]
	v_pk_fma_f32 v[96:97], v[98:99], v[40:41], v[96:97] op_sel:[0,0,1] op_sel_hi:[1,0,0]
	s_nop 0
	v_mov_b32_e32 v96, v43
	v_mov_b32_e32 v151, v97
	s_waitcnt lgkmcnt(1)
	v_pk_mul_f32 v[96:97], v[112:113], v[96:97] op_sel_hi:[1,0]
	s_nop 0
	v_pk_fma_f32 v[152:153], v[112:113], v[42:43], v[96:97] op_sel:[0,0,1] op_sel_hi:[1,1,0] neg_lo:[0,0,1] neg_hi:[0,0,1]
	v_pk_fma_f32 v[96:97], v[112:113], v[42:43], v[96:97] op_sel:[0,0,1] op_sel_hi:[1,0,0]
	s_nop 0
	v_mov_b32_e32 v153, v97
	v_pk_mul_f32 v[96:97], v[104:105], v[36:37] op_sel:[0,1]
	v_pk_add_f32 v[98:99], v[150:151], v[152:153] neg_lo:[0,1] neg_hi:[0,1]
	v_pk_fma_f32 v[154:155], v[104:105], v[36:37], v[96:97] op_sel:[0,0,1] op_sel_hi:[1,1,0] neg_lo:[0,0,1] neg_hi:[0,0,1]
	v_pk_fma_f32 v[96:97], v[104:105], v[36:37], v[96:97] op_sel:[0,0,1] op_sel_hi:[1,0,0]
	s_nop 0
	v_mov_b32_e32 v96, v39
	v_mov_b32_e32 v155, v97
	s_waitcnt lgkmcnt(0)
	v_pk_mul_f32 v[96:97], v[120:121], v[96:97] op_sel_hi:[1,0]
	v_pk_add_f32 v[156:157], v[152:153], v[154:155] neg_lo:[0,1] neg_hi:[0,1]
	v_pk_fma_f32 v[104:105], v[120:121], v[38:39], v[96:97] op_sel:[0,0,1] op_sel_hi:[1,1,0] neg_lo:[0,0,1] neg_hi:[0,0,1]
	v_pk_fma_f32 v[96:97], v[120:121], v[38:39], v[96:97] op_sel:[0,0,1] op_sel_hi:[1,0,0]
	s_nop 0
	v_mov_b32_e32 v105, v97
	v_pk_add_f32 v[96:97], v[152:153], v[154:155]
	v_pk_add_f32 v[120:121], v[150:151], v[104:105] neg_lo:[0,1] neg_hi:[0,1]
	v_pk_fma_f32 v[96:97], v[96:97], 0.5, v[108:109] op_sel_hi:[1,0,1] neg_lo:[1,0,0] neg_hi:[1,0,0]
	v_pk_add_f32 v[112:113], v[104:105], v[154:155] neg_lo:[0,1] neg_hi:[0,1]
	s_nop 0
	v_pk_add_f32 v[158:159], v[98:99], v[112:113]
	v_pk_fma_f32 v[98:99], v[120:121], s[16:17], v[96:97] op_sel:[1,0,0] op_sel_hi:[0,0,1] neg_lo:[1,0,0] neg_hi:[1,0,0]
	v_pk_fma_f32 v[96:97], v[120:121], s[16:17], v[96:97] op_sel:[1,0,0] op_sel_hi:[0,0,1]
	v_pk_fma_f32 v[160:161], v[156:157], s[14:15], v[96:97] op_sel:[1,0,0] op_sel_hi:[0,0,1]
	v_pk_fma_f32 v[162:163], v[156:157], s[14:15], v[98:99] op_sel:[1,0,0] op_sel_hi:[0,0,1] neg_lo:[1,0,0] neg_hi:[1,0,0]
	ds_read2_b64 v[96:99], v138 offset0:134 offset1:199
	v_mov_b32_e32 v112, v162
	v_mov_b32_e32 v113, v161
	v_pk_fma_f32 v[164:165], v[158:159], s[8:9], v[112:113] op_sel_hi:[1,0,1]
	ds_read2_b64 v[112:115], v140 offset0:16 offset1:81
	s_waitcnt lgkmcnt(1)
	v_pk_mul_f32 v[166:167], v[98:99], v[20:21] op_sel:[0,1]
	s_waitcnt lgkmcnt(0)
	v_pk_fma_f32 v[168:169], v[98:99], v[20:21], v[166:167] op_sel:[0,0,1] op_sel_hi:[1,1,0] neg_lo:[0,0,1] neg_hi:[0,0,1]
	v_pk_fma_f32 v[98:99], v[98:99], v[20:21], v[166:167] op_sel:[0,0,1] op_sel_hi:[1,0,0]
	s_barrier
	v_mov_b32_e32 v98, v23
	v_mov_b32_e32 v169, v99
	v_pk_mul_f32 v[98:99], v[110:111], v[98:99] op_sel_hi:[1,0]
	s_nop 0
	v_pk_fma_f32 v[166:167], v[110:111], v[22:23], v[98:99] op_sel:[0,0,1] op_sel_hi:[1,1,0] neg_lo:[0,0,1] neg_hi:[0,0,1]
	v_pk_fma_f32 v[98:99], v[110:111], v[22:23], v[98:99] op_sel:[0,0,1] op_sel_hi:[1,0,0]
	ds_write2_b64 v198, v[128:129], v[126:127] offset1:65
	ds_write2_b64 v198, v[92:93], v[78:79] offset0:130 offset1:195
	v_mov_b32_e32 v167, v99
	v_pk_mul_f32 v[98:99], v[114:115], v[16:17] op_sel:[0,1]
	v_mov_b32_e32 v161, v163
	v_pk_fma_f32 v[110:111], v[114:115], v[16:17], v[98:99] op_sel:[0,0,1] op_sel_hi:[1,1,0] neg_lo:[0,0,1] neg_hi:[0,0,1]
	v_pk_fma_f32 v[98:99], v[114:115], v[16:17], v[98:99] op_sel:[0,0,1] op_sel_hi:[1,0,0]
	s_nop 0
	v_mov_b32_e32 v98, v19
	v_mov_b32_e32 v111, v99
	v_pk_mul_f32 v[98:99], v[118:119], v[98:99] op_sel_hi:[1,0]
	s_nop 0
	v_pk_fma_f32 v[114:115], v[118:119], v[18:19], v[98:99] op_sel:[0,0,1] op_sel_hi:[1,1,0] neg_lo:[0,0,1] neg_hi:[0,0,1]
	v_pk_fma_f32 v[98:99], v[118:119], v[18:19], v[98:99] op_sel:[0,0,1] op_sel_hi:[1,0,0]
	v_pk_mul_f32 v[118:119], v[96:97], v[4:5] op_sel:[0,1]
	v_mov_b32_e32 v115, v99
	v_pk_fma_f32 v[170:171], v[96:97], v[4:5], v[118:119] op_sel:[0,0,1] op_sel_hi:[1,1,0] neg_lo:[0,0,1] neg_hi:[0,0,1]
	v_pk_fma_f32 v[96:97], v[96:97], v[4:5], v[118:119] op_sel:[0,0,1] op_sel_hi:[1,0,0]
	v_pk_add_f32 v[98:99], v[106:107], v[168:169]
	v_mov_b32_e32 v171, v97
	v_pk_mul_f32 v[96:97], v[94:95], v[122:123] op_sel_hi:[1,0]
	v_pk_add_f32 v[78:79], v[86:87], v[170:171]
	v_pk_fma_f32 v[118:119], v[94:95], v[6:7], v[96:97] op_sel:[0,0,1] op_sel_hi:[1,1,0] neg_lo:[0,0,1] neg_hi:[0,0,1]
	v_pk_fma_f32 v[94:95], v[94:95], v[6:7], v[96:97] op_sel:[0,0,1] op_sel_hi:[1,0,0]
	v_pk_add_f32 v[98:99], v[98:99], v[166:167]
	v_mov_b32_e32 v119, v95
	v_pk_mul_f32 v[94:95], v[112:113], v[0:1] op_sel:[0,1]
	v_pk_add_f32 v[78:79], v[78:79], v[118:119]
	v_pk_fma_f32 v[96:97], v[112:113], v[0:1], v[94:95] op_sel:[0,0,1] op_sel_hi:[1,1,0] neg_lo:[0,0,1] neg_hi:[0,0,1]
	v_pk_fma_f32 v[94:95], v[112:113], v[0:1], v[94:95] op_sel:[0,0,1] op_sel_hi:[1,0,0]
	v_pk_add_f32 v[98:99], v[98:99], v[110:111]
	v_mov_b32_e32 v97, v95
	v_pk_mul_f32 v[94:95], v[102:103], v[124:125] op_sel_hi:[1,0]
	v_pk_add_f32 v[78:79], v[78:79], v[96:97]
	v_pk_fma_f32 v[112:113], v[102:103], v[2:3], v[94:95] op_sel:[0,0,1] op_sel_hi:[1,1,0] neg_lo:[0,0,1] neg_hi:[0,0,1]
	v_pk_fma_f32 v[94:95], v[102:103], v[2:3], v[94:95] op_sel:[0,0,1] op_sel_hi:[1,0,0]
	v_pk_add_f32 v[124:125], v[170:171], v[118:119] neg_lo:[0,1] neg_hi:[0,1]
	v_mov_b32_e32 v113, v95
	v_pk_add_f32 v[94:95], v[118:119], v[96:97]
	v_pk_add_f32 v[78:79], v[78:79], v[112:113]
	v_pk_fma_f32 v[94:95], v[94:95], 0.5, v[86:87] op_sel_hi:[1,0,1] neg_lo:[1,0,0] neg_hi:[1,0,0]
	v_pk_add_f32 v[102:103], v[170:171], v[112:113] neg_lo:[0,1] neg_hi:[0,1]
	v_pk_add_f32 v[172:173], v[112:113], v[96:97] neg_lo:[0,1] neg_hi:[0,1]
	ds_write2_b64 v138, v[84:85], v[78:79] offset0:4 offset1:69
	v_pk_add_f32 v[84:85], v[170:171], v[112:113]
	v_pk_add_f32 v[122:123], v[118:119], v[96:97] neg_lo:[0,1] neg_hi:[0,1]
	v_pk_add_f32 v[124:125], v[124:125], v[172:173]
	v_pk_fma_f32 v[172:173], v[102:103], s[16:17], v[94:95] op_sel:[1,0,0] op_sel_hi:[0,0,1] neg_lo:[1,0,0] neg_hi:[1,0,0]
	v_pk_fma_f32 v[94:95], v[102:103], s[16:17], v[94:95] op_sel:[1,0,0] op_sel_hi:[0,0,1]
	v_pk_fma_f32 v[84:85], v[84:85], 0.5, v[86:87] op_sel_hi:[1,0,1] neg_lo:[1,0,0] neg_hi:[1,0,0]
	v_pk_add_f32 v[86:87], v[118:119], v[170:171] neg_lo:[0,1] neg_hi:[0,1]
	v_pk_add_f32 v[92:93], v[96:97], v[112:113] neg_lo:[0,1] neg_hi:[0,1]
	v_pk_fma_f32 v[94:95], v[122:123], s[14:15], v[94:95] op_sel:[1,0,0] op_sel_hi:[0,0,1]
	v_pk_fma_f32 v[172:173], v[122:123], s[14:15], v[172:173] op_sel:[1,0,0] op_sel_hi:[0,0,1] neg_lo:[1,0,0] neg_hi:[1,0,0]
	v_pk_add_f32 v[86:87], v[86:87], v[92:93]
	v_pk_fma_f32 v[92:93], v[122:123], s[16:17], v[84:85] op_sel:[1,0,0] op_sel_hi:[0,0,1]
	v_pk_fma_f32 v[84:85], v[122:123], s[16:17], v[84:85] op_sel:[1,0,0] op_sel_hi:[0,0,1] neg_lo:[1,0,0] neg_hi:[1,0,0]
	v_mov_b32_e32 v175, v95
	v_mov_b32_e32 v95, v173
	v_pk_fma_f32 v[84:85], v[102:103], s[14:15], v[84:85] op_sel:[1,0,0] op_sel_hi:[0,0,1]
	v_pk_fma_f32 v[92:93], v[102:103], s[14:15], v[92:93] op_sel:[1,0,0] op_sel_hi:[0,0,1] neg_lo:[1,0,0] neg_hi:[1,0,0]
	v_pk_fma_f32 v[78:79], v[124:125], s[8:9], v[94:95] op_sel_hi:[1,0,1]
	v_mov_b32_e32 v95, v85
	v_mov_b32_e32 v85, v93
	;; [unrolled: 1-line block ×4, first 2 shown]
	v_pk_fma_f32 v[84:85], v[86:87], s[8:9], v[84:85] op_sel_hi:[1,0,1]
	v_pk_fma_f32 v[174:175], v[124:125], s[8:9], v[174:175] op_sel_hi:[1,0,1]
	;; [unrolled: 1-line block ×3, first 2 shown]
	ds_write2_b64 v138, v[78:79], v[84:85] offset0:134 offset1:199
	ds_write2_b64 v139, v[94:95], v[174:175] offset0:8 offset1:73
	v_pk_add_f32 v[78:79], v[166:167], v[110:111]
	v_pk_add_f32 v[84:85], v[168:169], v[114:115] neg_lo:[0,1] neg_hi:[0,1]
	v_pk_fma_f32 v[78:79], v[78:79], 0.5, v[106:107] op_sel_hi:[1,0,1] neg_lo:[1,0,0] neg_hi:[1,0,0]
	v_pk_mul_f32 v[86:87], v[84:85], s[16:17] op_sel_hi:[1,0]
	v_pk_add_f32 v[92:93], v[166:167], v[110:111] neg_lo:[0,1] neg_hi:[0,1]
	v_pk_add_f32 v[96:97], v[168:169], v[166:167] neg_lo:[0,1] neg_hi:[0,1]
	;; [unrolled: 1-line block ×3, first 2 shown]
	v_pk_mul_f32 v[94:95], v[92:93], s[14:15] op_sel_hi:[1,0]
	v_pk_add_f32 v[96:97], v[96:97], v[102:103]
	v_pk_add_f32 v[102:103], v[78:79], v[86:87] op_sel:[0,1] op_sel_hi:[1,0]
	v_pk_add_f32 v[78:79], v[78:79], v[86:87] op_sel:[0,1] op_sel_hi:[1,0] neg_lo:[0,1] neg_hi:[0,1]
	v_pk_add_f32 v[86:87], v[102:103], v[94:95] op_sel:[0,1] op_sel_hi:[1,0]
	v_pk_add_f32 v[78:79], v[78:79], v[94:95] op_sel:[0,1] op_sel_hi:[1,0] neg_lo:[0,1] neg_hi:[0,1]
	v_mov_b32_e32 v94, v86
	v_mov_b32_e32 v95, v79
	v_pk_add_f32 v[98:99], v[98:99], v[114:115]
	v_pk_fma_f32 v[94:95], v[96:97], s[8:9], v[94:95] op_sel_hi:[1,0,1]
	ds_write2_b64 v9, v[98:99], v[94:95] offset0:138 offset1:203
	v_pk_add_f32 v[94:95], v[168:169], v[114:115]
	v_pk_add_f32 v[98:99], v[166:167], v[168:169] neg_lo:[0,1] neg_hi:[0,1]
	v_pk_fma_f32 v[94:95], v[94:95], 0.5, v[106:107] op_sel_hi:[1,0,1] neg_lo:[1,0,0] neg_hi:[1,0,0]
	v_pk_add_f32 v[102:103], v[110:111], v[114:115] neg_lo:[0,1] neg_hi:[0,1]
	v_pk_mul_f32 v[92:93], v[92:93], s[16:17] op_sel_hi:[1,0]
	v_mov_b32_e32 v79, v87
	v_pk_add_f32 v[98:99], v[98:99], v[102:103]
	v_pk_mul_f32 v[84:85], v[84:85], s[14:15] op_sel_hi:[1,0]
	v_pk_add_f32 v[102:103], v[94:95], v[92:93] op_sel:[0,1] op_sel_hi:[1,0] neg_lo:[0,1] neg_hi:[0,1]
	v_pk_add_f32 v[92:93], v[94:95], v[92:93] op_sel:[0,1] op_sel_hi:[1,0]
	v_pk_fma_f32 v[78:79], v[96:97], s[8:9], v[78:79] op_sel_hi:[1,0,1]
	v_pk_add_f32 v[92:93], v[92:93], v[84:85] op_sel:[0,1] op_sel_hi:[1,0] neg_lo:[0,1] neg_hi:[0,1]
	v_pk_add_f32 v[84:85], v[102:103], v[84:85] op_sel:[0,1] op_sel_hi:[1,0]
	ds_write_b64 v69, v[78:79] offset:7280
	v_pk_add_f32 v[78:79], v[108:109], v[150:151]
	v_mov_b32_e32 v94, v84
	v_mov_b32_e32 v95, v93
	;; [unrolled: 1-line block ×3, first 2 shown]
	v_pk_add_f32 v[78:79], v[78:79], v[152:153]
	v_pk_fma_f32 v[94:95], v[98:99], s[8:9], v[94:95] op_sel_hi:[1,0,1]
	v_pk_fma_f32 v[84:85], v[98:99], s[8:9], v[92:93] op_sel_hi:[1,0,1]
	v_add_u32_e32 v9, 0x1800, v69
	v_pk_add_f32 v[78:79], v[78:79], v[154:155]
	ds_write2_b64 v9, v[94:95], v[84:85] offset0:12 offset1:77
	v_pk_add_f32 v[78:79], v[78:79], v[104:105]
	v_pk_fma_f32 v[84:85], v[158:159], s[8:9], v[160:161] op_sel_hi:[1,0,1]
	v_add_u32_e32 v9, 0x1c00, v11
	ds_write2_b64 v9, v[78:79], v[84:85] offset0:79 offset1:144
	v_pk_add_f32 v[78:79], v[150:151], v[104:105]
	v_pk_add_f32 v[84:85], v[152:153], v[150:151] neg_lo:[0,1] neg_hi:[0,1]
	v_pk_fma_f32 v[78:79], v[78:79], 0.5, v[108:109] op_sel_hi:[1,0,1] neg_lo:[1,0,0] neg_hi:[1,0,0]
	v_pk_add_f32 v[86:87], v[154:155], v[104:105] neg_lo:[0,1] neg_hi:[0,1]
	v_add_u32_e32 v9, 0x2000, v11
	v_pk_add_f32 v[84:85], v[84:85], v[86:87]
	v_pk_fma_f32 v[86:87], v[156:157], s[16:17], v[78:79] op_sel:[1,0,0] op_sel_hi:[0,0,1]
	v_pk_fma_f32 v[78:79], v[156:157], s[16:17], v[78:79] op_sel:[1,0,0] op_sel_hi:[0,0,1] neg_lo:[1,0,0] neg_hi:[1,0,0]
	v_pk_fma_f32 v[78:79], v[120:121], s[14:15], v[78:79] op_sel:[1,0,0] op_sel_hi:[0,0,1]
	v_pk_fma_f32 v[86:87], v[120:121], s[14:15], v[86:87] op_sel:[1,0,0] op_sel_hi:[0,0,1] neg_lo:[1,0,0] neg_hi:[1,0,0]
	v_mov_b32_e32 v92, v86
	v_mov_b32_e32 v93, v79
	;; [unrolled: 1-line block ×3, first 2 shown]
	v_pk_fma_f32 v[92:93], v[84:85], s[8:9], v[92:93] op_sel_hi:[1,0,1]
	v_pk_fma_f32 v[78:79], v[84:85], s[8:9], v[78:79] op_sel_hi:[1,0,1]
	ds_write2_b64 v9, v[78:79], v[92:93] offset0:81 offset1:146
	v_pk_add_f32 v[78:79], v[64:65], v[66:67]
	v_pk_fma_f32 v[84:85], v[142:143], s[8:9], v[144:145] op_sel_hi:[1,0,1]
	v_pk_add_f32 v[78:79], v[78:79], v[70:71]
	v_add_u32_e32 v9, 0x2800, v10
	v_pk_add_f32 v[78:79], v[78:79], v[100:101]
	ds_write_b64 v11, v[164:165] offset:9880
	v_pk_add_f32 v[78:79], v[78:79], v[130:131]
	ds_write2_b64 v9, v[78:79], v[84:85] offset0:20 offset1:85
	v_pk_add_f32 v[78:79], v[66:67], v[130:131]
	v_pk_add_f32 v[66:67], v[70:71], v[66:67] neg_lo:[0,1] neg_hi:[0,1]
	v_pk_fma_f32 v[64:65], v[78:79], 0.5, v[64:65] op_sel_hi:[1,0,1] neg_lo:[1,0,0] neg_hi:[1,0,0]
	v_pk_add_f32 v[70:71], v[100:101], v[130:131] neg_lo:[0,1] neg_hi:[0,1]
	ds_write_b64 v10, v[148:149] offset:12480
	v_pk_add_f32 v[66:67], v[66:67], v[70:71]
	v_pk_fma_f32 v[70:71], v[134:135], s[16:17], v[64:65] op_sel:[1,0,0] op_sel_hi:[0,0,1]
	v_pk_fma_f32 v[64:65], v[134:135], s[16:17], v[64:65] op_sel:[1,0,0] op_sel_hi:[0,0,1] neg_lo:[1,0,0] neg_hi:[1,0,0]
	v_pk_fma_f32 v[64:65], v[132:133], s[14:15], v[64:65] op_sel:[1,0,0] op_sel_hi:[0,0,1]
	v_pk_fma_f32 v[70:71], v[132:133], s[14:15], v[70:71] op_sel:[1,0,0] op_sel_hi:[0,0,1] neg_lo:[1,0,0] neg_hi:[1,0,0]
	v_mov_b32_e32 v78, v70
	v_mov_b32_e32 v79, v65
	;; [unrolled: 1-line block ×3, first 2 shown]
	v_pk_fma_f32 v[78:79], v[66:67], s[8:9], v[78:79] op_sel_hi:[1,0,1]
	v_pk_fma_f32 v[64:65], v[66:67], s[8:9], v[64:65] op_sel_hi:[1,0,1]
	ds_write2_b64 v9, v[64:65], v[78:79] offset0:150 offset1:215
	v_lshlrev_b32_e32 v9, 5, v68
	s_waitcnt lgkmcnt(0)
	s_barrier
	global_load_dwordx4 v[68:71], v9, s[0:1] offset:2496
	global_load_dwordx4 v[64:67], v9, s[0:1] offset:2512
	v_lshlrev_b32_e32 v9, 5, v76
	global_load_dwordx4 v[84:87], v9, s[0:1] offset:2496
	global_load_dwordx4 v[76:79], v9, s[0:1] offset:2512
	;; [unrolled: 1-line block ×4, first 2 shown]
	v_lshlrev_b32_e32 v8, 5, v88
	global_load_dwordx4 v[96:99], v8, s[0:1] offset:2512
	global_load_dwordx4 v[100:103], v8, s[0:1] offset:2496
	v_lshlrev_b32_e32 v8, 5, v90
	global_load_dwordx4 v[88:91], v8, s[0:1] offset:2512
	global_load_dwordx4 v[92:95], v8, s[0:1] offset:2496
	ds_read2_b64 v[118:121], v139 offset0:8 offset1:73
	ds_read2_b64 v[142:145], v138 offset0:4 offset1:69
	;; [unrolled: 1-line block ×4, first 2 shown]
	ds_read_b64 v[112:113], v198 offset:12480
	v_lshl_add_u32 v9, v226, 3, v199
	v_add_u32_e32 v8, 0x1c00, v9
	s_movk_i32 s0, 0x3000
	v_accvgpr_write_b32 a23, v9
	s_waitcnt vmcnt(9) lgkmcnt(4)
	v_pk_mul_f32 v[114:115], v[120:121], v[68:69] op_sel:[0,1]
	s_nop 0
	v_pk_fma_f32 v[130:131], v[120:121], v[68:69], v[114:115] op_sel:[0,0,1] op_sel_hi:[1,1,0] neg_lo:[0,0,1] neg_hi:[0,0,1]
	v_pk_fma_f32 v[114:115], v[120:121], v[68:69], v[114:115] op_sel:[0,0,1] op_sel_hi:[1,0,0]
	s_waitcnt vmcnt(7)
	v_mov_b32_e32 v120, v85
	v_mov_b32_e32 v114, v71
	;; [unrolled: 1-line block ×3, first 2 shown]
	s_waitcnt lgkmcnt(2)
	v_pk_mul_f32 v[114:115], v[146:147], v[114:115] op_sel_hi:[1,0]
	s_nop 0
	v_pk_fma_f32 v[132:133], v[146:147], v[70:71], v[114:115] op_sel:[0,0,1] op_sel_hi:[1,1,0] neg_lo:[0,0,1] neg_hi:[0,0,1]
	v_pk_fma_f32 v[114:115], v[146:147], v[70:71], v[114:115] op_sel:[0,0,1] op_sel_hi:[1,0,0]
	s_nop 0
	v_mov_b32_e32 v133, v115
	s_waitcnt lgkmcnt(1)
	v_pk_mul_f32 v[114:115], v[124:125], v[64:65] op_sel:[0,1]
	s_nop 0
	v_pk_fma_f32 v[146:147], v[124:125], v[64:65], v[114:115] op_sel:[0,0,1] op_sel_hi:[1,1,0] neg_lo:[0,0,1] neg_hi:[0,0,1]
	v_pk_fma_f32 v[114:115], v[124:125], v[64:65], v[114:115] op_sel:[0,0,1] op_sel_hi:[1,0,0]
	s_nop 0
	v_mov_b32_e32 v114, v67
	v_mov_b32_e32 v147, v115
	s_waitcnt lgkmcnt(0)
	v_pk_mul_f32 v[114:115], v[112:113], v[114:115] op_sel_hi:[1,0]
	s_nop 0
	v_pk_fma_f32 v[158:159], v[112:113], v[66:67], v[114:115] op_sel:[0,0,1] op_sel_hi:[1,1,0] neg_lo:[0,0,1] neg_hi:[0,0,1]
	v_pk_fma_f32 v[112:113], v[112:113], v[66:67], v[114:115] op_sel:[0,0,1] op_sel_hi:[1,0,0]
	s_nop 0
	v_mov_b32_e32 v159, v113
	ds_read2_b64 v[112:115], v198 offset0:130 offset1:195
	ds_read2_b64 v[150:153], v116 offset0:12 offset1:77
	;; [unrolled: 1-line block ×3, first 2 shown]
	v_pk_mul_f32 v[116:117], v[118:119], v[84:85] op_sel_hi:[1,0]
	s_nop 0
	v_pk_fma_f32 v[120:121], v[118:119], v[120:121], v[116:117] op_sel:[0,0,1] op_sel_hi:[1,1,0]
	v_pk_fma_f32 v[116:117], v[118:119], v[84:85], v[116:117] op_sel:[0,1,1] op_sel_hi:[1,1,0] neg_lo:[1,0,0] neg_hi:[1,0,0]
	s_nop 0
	v_mov_b32_e32 v116, v87
	s_waitcnt lgkmcnt(1)
	v_pk_mul_f32 v[118:119], v[152:153], v[116:117] op_sel_hi:[1,0]
	s_waitcnt vmcnt(6)
	v_mov_b32_e32 v116, v79
	v_pk_fma_f32 v[124:125], v[152:153], v[86:87], v[118:119] op_sel:[0,0,1] op_sel_hi:[1,1,0] neg_lo:[0,0,1] neg_hi:[0,0,1]
	v_pk_fma_f32 v[118:119], v[152:153], v[86:87], v[118:119] op_sel:[0,0,1] op_sel_hi:[1,0,0]
	v_mov_b32_e32 v121, v117
	v_mov_b32_e32 v125, v119
	v_pk_mul_f32 v[118:119], v[122:123], v[76:77] op_sel:[0,1]
	s_nop 0
	v_pk_fma_f32 v[126:127], v[122:123], v[76:77], v[118:119] op_sel:[0,0,1] op_sel_hi:[1,1,0] neg_lo:[0,0,1] neg_hi:[0,0,1]
	v_pk_fma_f32 v[118:119], v[122:123], v[76:77], v[118:119] op_sel:[0,0,1] op_sel_hi:[1,0,0]
	v_mov_b32_e32 v122, v79
	v_mov_b32_e32 v127, v119
	s_waitcnt lgkmcnt(0)
	v_pk_mul_f32 v[118:119], v[156:157], v[78:79] op_sel_hi:[1,0]
	s_nop 0
	v_pk_fma_f32 v[128:129], v[156:157], v[116:117], v[118:119] op_sel:[0,0,1] op_sel_hi:[1,1,0]
	v_pk_fma_f32 v[118:119], v[156:157], v[122:123], v[118:119] op_sel:[0,0,1] op_sel_hi:[1,0,0] neg_lo:[1,0,0] neg_hi:[1,0,0]
	v_mov_b32_e32 v122, v117
	v_mov_b32_e32 v123, v120
	v_pk_add_f32 v[116:117], v[124:125], v[126:127]
	v_mov_b32_e32 v129, v119
	v_pk_fma_f32 v[134:135], v[116:117], 0.5, v[114:115] op_sel_hi:[1,0,1] neg_lo:[1,0,0] neg_hi:[1,0,0]
	v_pk_add_f32 v[116:117], v[114:115], v[122:123]
	v_mov_b32_e32 v118, v119
	v_pk_add_f32 v[116:117], v[116:117], v[124:125]
	v_mov_b32_e32 v119, v128
	v_pk_add_f32 v[116:117], v[116:117], v[126:127]
	v_pk_add_f32 v[152:153], v[120:121], v[128:129] neg_lo:[0,1] neg_hi:[0,1]
	v_pk_add_f32 v[116:117], v[116:117], v[118:119]
	v_pk_add_f32 v[160:161], v[122:123], v[124:125] neg_lo:[0,1] neg_hi:[0,1]
	v_pk_add_f32 v[162:163], v[118:119], v[126:127] neg_lo:[0,1] neg_hi:[0,1]
	v_pk_add_f32 v[122:123], v[124:125], v[122:123] neg_lo:[0,1] neg_hi:[0,1]
	v_pk_add_f32 v[118:119], v[126:127], v[118:119] neg_lo:[0,1] neg_hi:[0,1]
	v_pk_add_f32 v[120:121], v[120:121], v[128:129]
	v_pk_add_f32 v[122:123], v[122:123], v[118:119]
	v_pk_add_f32 v[118:119], v[124:125], v[126:127] neg_lo:[0,1] neg_hi:[0,1]
	v_pk_mul_f32 v[120:121], v[120:121], 0.5 op_sel_hi:[1,0]
	v_pk_fma_f32 v[156:157], v[152:153], s[16:17], v[134:135] op_sel_hi:[1,0,1] neg_lo:[1,0,0] neg_hi:[1,0,0]
	v_pk_add_f32 v[114:115], v[114:115], v[120:121] op_sel:[0,1] op_sel_hi:[1,0] neg_lo:[0,1] neg_hi:[0,1]
	v_pk_mul_f32 v[120:121], v[118:119], s[16:17] op_sel_hi:[1,0]
	v_pk_fma_f32 v[134:135], v[152:153], s[16:17], v[134:135] op_sel_hi:[1,0,1]
	v_pk_add_f32 v[124:125], v[114:115], v[120:121] op_sel:[0,1] op_sel_hi:[1,0] neg_lo:[0,1] neg_hi:[0,1]
	v_pk_add_f32 v[114:115], v[120:121], v[114:115] op_sel:[1,0] op_sel_hi:[0,1]
	v_pk_fma_f32 v[114:115], v[152:153], s[14:15], v[114:115] op_sel_hi:[1,0,1] neg_lo:[1,0,0] neg_hi:[1,0,0]
	v_pk_fma_f32 v[124:125], v[152:153], s[14:15], v[124:125] op_sel_hi:[1,0,1]
	v_mov_b32_e32 v126, v114
	v_mov_b32_e32 v127, v125
	;; [unrolled: 1-line block ×3, first 2 shown]
	v_pk_add_f32 v[114:115], v[142:143], v[130:131]
	v_pk_mul_f32 v[118:119], v[118:119], s[14:15] op_sel_hi:[1,0]
	v_pk_add_f32 v[114:115], v[114:115], v[132:133]
	v_pk_add_f32 v[128:129], v[156:157], v[118:119] op_sel:[0,1] op_sel_hi:[1,0] neg_lo:[0,1] neg_hi:[0,1]
	v_pk_add_f32 v[114:115], v[114:115], v[146:147]
	v_pk_add_f32 v[134:135], v[134:135], v[118:119] op_sel:[0,1] op_sel_hi:[1,0]
	v_pk_fma_f32 v[124:125], v[122:123], s[8:9], v[124:125] op_sel_hi:[1,0,1]
	v_pk_fma_f32 v[126:127], v[122:123], s[8:9], v[126:127] op_sel_hi:[1,0,1]
	v_pk_add_f32 v[122:123], v[114:115], v[158:159]
	v_pk_add_f32 v[114:115], v[132:133], v[146:147]
	v_pk_add_f32 v[120:121], v[160:161], v[162:163]
	v_mov_b32_e32 v118, v134
	v_mov_b32_e32 v119, v129
	v_mov_b32_e32 v129, v135
	v_pk_fma_f32 v[114:115], v[114:115], 0.5, v[142:143] op_sel_hi:[1,0,1] neg_lo:[1,0,0] neg_hi:[1,0,0]
	v_pk_add_f32 v[152:153], v[130:131], v[158:159] neg_lo:[0,1] neg_hi:[0,1]
	v_pk_fma_f32 v[118:119], v[120:121], s[8:9], v[118:119] op_sel_hi:[1,0,1]
	v_pk_fma_f32 v[120:121], v[120:121], s[8:9], v[128:129] op_sel_hi:[1,0,1]
	v_pk_fma_f32 v[128:129], v[152:153], s[16:17], v[114:115] op_sel:[1,0,0] op_sel_hi:[0,0,1]
	v_pk_fma_f32 v[114:115], v[152:153], s[16:17], v[114:115] op_sel:[1,0,0] op_sel_hi:[0,0,1] neg_lo:[1,0,0] neg_hi:[1,0,0]
	v_pk_add_f32 v[156:157], v[132:133], v[146:147] neg_lo:[0,1] neg_hi:[0,1]
	v_pk_add_f32 v[160:161], v[130:131], v[132:133] neg_lo:[0,1] neg_hi:[0,1]
	v_pk_fma_f32 v[114:115], v[156:157], s[14:15], v[114:115] op_sel:[1,0,0] op_sel_hi:[0,0,1] neg_lo:[1,0,0] neg_hi:[1,0,0]
	v_pk_fma_f32 v[134:135], v[156:157], s[14:15], v[128:129] op_sel:[1,0,0] op_sel_hi:[0,0,1]
	v_pk_add_f32 v[162:163], v[158:159], v[146:147] neg_lo:[0,1] neg_hi:[0,1]
	v_mov_b32_e32 v129, v115
	v_pk_add_f32 v[160:161], v[160:161], v[162:163]
	v_mov_b32_e32 v115, v135
	v_mov_b32_e32 v128, v134
	v_pk_fma_f32 v[134:135], v[160:161], s[8:9], v[114:115] op_sel_hi:[1,0,1]
	v_pk_add_f32 v[114:115], v[130:131], v[158:159]
	v_pk_add_f32 v[130:131], v[132:133], v[130:131] neg_lo:[0,1] neg_hi:[0,1]
	v_pk_fma_f32 v[114:115], v[114:115], 0.5, v[142:143] op_sel_hi:[1,0,1] neg_lo:[1,0,0] neg_hi:[1,0,0]
	v_pk_add_f32 v[132:133], v[146:147], v[158:159] neg_lo:[0,1] neg_hi:[0,1]
	v_pk_fma_f32 v[142:143], v[156:157], s[16:17], v[114:115] op_sel:[1,0,0] op_sel_hi:[0,0,1] neg_lo:[1,0,0] neg_hi:[1,0,0]
	v_pk_fma_f32 v[114:115], v[156:157], s[16:17], v[114:115] op_sel:[1,0,0] op_sel_hi:[0,0,1]
	v_pk_fma_f32 v[114:115], v[152:153], s[14:15], v[114:115] op_sel:[1,0,0] op_sel_hi:[0,0,1] neg_lo:[1,0,0] neg_hi:[1,0,0]
	v_pk_fma_f32 v[142:143], v[152:153], s[14:15], v[142:143] op_sel:[1,0,0] op_sel_hi:[0,0,1]
	v_pk_fma_f32 v[128:129], v[160:161], s[8:9], v[128:129] op_sel_hi:[1,0,1]
	v_mov_b32_e32 v152, v142
	v_mov_b32_e32 v153, v115
	v_pk_add_f32 v[132:133], v[130:131], v[132:133]
	v_mov_b32_e32 v115, v143
	ds_read2_b64 v[156:159], v138 offset0:134 offset1:199
	ds_read2_b64 v[160:163], v198 offset1:65
	ds_read2_b64 v[164:167], v139 offset0:138 offset1:203
	ds_read2_b64 v[168:171], v140 offset0:16 offset1:81
	;; [unrolled: 1-line block ×3, first 2 shown]
	v_pk_fma_f32 v[130:131], v[132:133], s[8:9], v[152:153] op_sel_hi:[1,0,1]
	v_pk_fma_f32 v[132:133], v[132:133], s[8:9], v[114:115] op_sel_hi:[1,0,1]
	s_waitcnt vmcnt(2) lgkmcnt(4)
	v_pk_mul_f32 v[114:115], v[156:157], v[100:101] op_sel:[0,1]
	v_accvgpr_write_b32 a46, v116
	v_pk_fma_f32 v[142:143], v[156:157], v[100:101], v[114:115] op_sel:[0,0,1] op_sel_hi:[1,1,0] neg_lo:[0,0,1] neg_hi:[0,0,1]
	v_pk_fma_f32 v[114:115], v[156:157], v[100:101], v[114:115] op_sel:[0,0,1] op_sel_hi:[1,0,0]
	v_accvgpr_write_b32 a54, v124
	v_mov_b32_e32 v114, v103
	v_mov_b32_e32 v143, v115
	s_waitcnt lgkmcnt(2)
	v_pk_mul_f32 v[114:115], v[166:167], v[114:115] op_sel_hi:[1,0]
	v_accvgpr_write_b32 a50, v120
	v_pk_fma_f32 v[146:147], v[166:167], v[102:103], v[114:115] op_sel:[0,0,1] op_sel_hi:[1,1,0] neg_lo:[0,0,1] neg_hi:[0,0,1]
	v_pk_fma_f32 v[114:115], v[166:167], v[102:103], v[114:115] op_sel:[0,0,1] op_sel_hi:[1,0,0]
	v_accvgpr_write_b32 a58, v128
	v_mov_b32_e32 v147, v115
	s_waitcnt lgkmcnt(1)
	v_pk_mul_f32 v[114:115], v[168:169], v[96:97] op_sel:[0,1]
	v_accvgpr_write_b32 a62, v132
	v_pk_fma_f32 v[152:153], v[168:169], v[96:97], v[114:115] op_sel:[0,0,1] op_sel_hi:[1,1,0] neg_lo:[0,0,1] neg_hi:[0,0,1]
	v_pk_fma_f32 v[114:115], v[168:169], v[96:97], v[114:115] op_sel:[0,0,1] op_sel_hi:[1,0,0]
	v_accvgpr_write_b32 a47, v117
	v_mov_b32_e32 v114, v99
	v_mov_b32_e32 v153, v115
	s_waitcnt lgkmcnt(0)
	v_pk_mul_f32 v[114:115], v[140:141], v[114:115] op_sel_hi:[1,0]
	v_accvgpr_write_b32 a48, v118
	v_pk_fma_f32 v[156:157], v[140:141], v[98:99], v[114:115] op_sel:[0,0,1] op_sel_hi:[1,1,0] neg_lo:[0,0,1] neg_hi:[0,0,1]
	v_pk_fma_f32 v[114:115], v[140:141], v[98:99], v[114:115] op_sel:[0,0,1] op_sel_hi:[1,0,0]
	s_waitcnt vmcnt(0)
	v_pk_mul_f32 v[140:141], v[158:159], v[92:93] op_sel:[0,1]
	v_mov_b32_e32 v157, v115
	v_pk_fma_f32 v[166:167], v[158:159], v[92:93], v[140:141] op_sel:[0,0,1] op_sel_hi:[1,1,0] neg_lo:[0,0,1] neg_hi:[0,0,1]
	v_pk_fma_f32 v[140:141], v[158:159], v[92:93], v[140:141] op_sel:[0,0,1] op_sel_hi:[1,0,0]
	v_pk_add_f32 v[114:115], v[162:163], v[142:143]
	v_mov_b32_e32 v140, v95
	v_pk_mul_f32 v[158:159], v[150:151], v[140:141] op_sel_hi:[1,0]
	v_mov_b32_e32 v140, v91
	v_pk_fma_f32 v[168:169], v[150:151], v[94:95], v[158:159] op_sel:[0,0,1] op_sel_hi:[1,1,0] neg_lo:[0,0,1] neg_hi:[0,0,1]
	v_pk_fma_f32 v[150:151], v[150:151], v[94:95], v[158:159] op_sel:[0,0,1] op_sel_hi:[1,0,0]
	v_mov_b32_e32 v167, v141
	v_mov_b32_e32 v169, v151
	v_pk_mul_f32 v[150:151], v[170:171], v[88:89] op_sel:[0,1]
	v_pk_add_f32 v[114:115], v[114:115], v[146:147]
	v_pk_fma_f32 v[158:159], v[170:171], v[88:89], v[150:151] op_sel:[0,0,1] op_sel_hi:[1,1,0] neg_lo:[0,0,1] neg_hi:[0,0,1]
	v_pk_fma_f32 v[150:151], v[170:171], v[88:89], v[150:151] op_sel:[0,0,1] op_sel_hi:[1,0,0]
	v_pk_add_f32 v[114:115], v[114:115], v[152:153]
	v_mov_b32_e32 v159, v151
	v_pk_mul_f32 v[150:151], v[154:155], v[140:141] op_sel_hi:[1,0]
	v_mov_b32_e32 v140, v141
	v_pk_fma_f32 v[170:171], v[154:155], v[90:91], v[150:151] op_sel:[0,0,1] op_sel_hi:[1,1,0] neg_lo:[0,0,1] neg_hi:[0,0,1]
	v_pk_fma_f32 v[150:151], v[154:155], v[90:91], v[150:151] op_sel:[0,0,1] op_sel_hi:[1,0,0]
	v_mov_b32_e32 v141, v166
	v_mov_b32_e32 v171, v151
	v_mov_b32_e32 v150, v151
	v_mov_b32_e32 v151, v170
	v_pk_add_f32 v[150:151], v[140:141], v[150:151] neg_lo:[0,1] neg_hi:[0,1]
	v_pk_add_f32 v[140:141], v[168:169], v[166:167] neg_lo:[0,1] neg_hi:[0,1]
	;; [unrolled: 1-line block ×3, first 2 shown]
	v_pk_add_f32 v[114:115], v[114:115], v[156:157]
	v_pk_add_f32 v[174:175], v[140:141], v[174:175]
	v_pk_mul_f32 v[140:141], v[144:145], v[108:109] op_sel:[0,1]
	v_pk_add_f32 v[154:155], v[112:113], v[166:167]
	v_pk_fma_f32 v[176:177], v[144:145], v[108:109], v[140:141] op_sel:[0,0,1] op_sel_hi:[1,1,0] neg_lo:[0,0,1] neg_hi:[0,0,1]
	v_pk_fma_f32 v[140:141], v[144:145], v[108:109], v[140:141] op_sel:[0,0,1] op_sel_hi:[1,0,0]
	v_pk_add_f32 v[154:155], v[154:155], v[168:169]
	v_mov_b32_e32 v140, v111
	v_mov_b32_e32 v177, v141
	v_pk_mul_f32 v[140:141], v[164:165], v[140:141] op_sel_hi:[1,0]
	v_pk_add_f32 v[186:187], v[160:161], v[176:177]
	v_pk_fma_f32 v[144:145], v[164:165], v[110:111], v[140:141] op_sel:[0,0,1] op_sel_hi:[1,1,0] neg_lo:[0,0,1] neg_hi:[0,0,1]
	v_pk_fma_f32 v[140:141], v[164:165], v[110:111], v[140:141] op_sel:[0,0,1] op_sel_hi:[1,0,0]
	v_pk_add_f32 v[154:155], v[154:155], v[158:159]
	v_mov_b32_e32 v145, v141
	v_pk_mul_f32 v[140:141], v[148:149], v[104:105] op_sel:[0,1]
	v_pk_add_f32 v[186:187], v[186:187], v[144:145]
	v_pk_fma_f32 v[164:165], v[148:149], v[104:105], v[140:141] op_sel:[0,0,1] op_sel_hi:[1,1,0] neg_lo:[0,0,1] neg_hi:[0,0,1]
	v_pk_fma_f32 v[140:141], v[148:149], v[104:105], v[140:141] op_sel:[0,0,1] op_sel_hi:[1,0,0]
	v_pk_add_f32 v[180:181], v[176:177], v[144:145] neg_lo:[0,1] neg_hi:[0,1]
	v_mov_b32_e32 v140, v107
	v_mov_b32_e32 v165, v141
	v_pk_mul_f32 v[140:141], v[138:139], v[140:141] op_sel_hi:[1,0]
	v_pk_add_f32 v[186:187], v[186:187], v[164:165]
	v_pk_fma_f32 v[148:149], v[138:139], v[106:107], v[140:141] op_sel:[0,0,1] op_sel_hi:[1,1,0] neg_lo:[0,0,1] neg_hi:[0,0,1]
	v_pk_fma_f32 v[138:139], v[138:139], v[106:107], v[140:141] op_sel:[0,0,1] op_sel_hi:[1,0,0]
	v_pk_add_f32 v[178:179], v[144:145], v[164:165] neg_lo:[0,1] neg_hi:[0,1]
	v_mov_b32_e32 v149, v139
	v_pk_add_f32 v[186:187], v[186:187], v[148:149]
	v_pk_add_f32 v[138:139], v[144:145], v[164:165]
	ds_write_b64 v198, v[186:187]
	v_pk_add_f32 v[186:187], v[176:177], v[148:149]
	v_pk_fma_f32 v[138:139], v[138:139], 0.5, v[160:161] op_sel_hi:[1,0,1] neg_lo:[1,0,0] neg_hi:[1,0,0]
	v_pk_add_f32 v[140:141], v[176:177], v[148:149] neg_lo:[0,1] neg_hi:[0,1]
	v_pk_add_f32 v[182:183], v[148:149], v[164:165] neg_lo:[0,1] neg_hi:[0,1]
	v_pk_fma_f32 v[160:161], v[186:187], 0.5, v[160:161] op_sel_hi:[1,0,1] neg_lo:[1,0,0] neg_hi:[1,0,0]
	v_pk_add_f32 v[144:145], v[144:145], v[176:177] neg_lo:[0,1] neg_hi:[0,1]
	v_pk_add_f32 v[148:149], v[164:165], v[148:149] neg_lo:[0,1] neg_hi:[0,1]
	v_pk_add_f32 v[180:181], v[180:181], v[182:183]
	v_pk_add_f32 v[144:145], v[144:145], v[148:149]
	v_pk_fma_f32 v[148:149], v[178:179], s[16:17], v[160:161] op_sel:[1,0,0] op_sel_hi:[0,0,1] neg_lo:[1,0,0] neg_hi:[1,0,0]
	v_pk_fma_f32 v[160:161], v[178:179], s[16:17], v[160:161] op_sel:[1,0,0] op_sel_hi:[0,0,1]
	v_pk_fma_f32 v[182:183], v[140:141], s[16:17], v[138:139] op_sel:[1,0,0] op_sel_hi:[0,0,1]
	v_pk_fma_f32 v[138:139], v[140:141], s[16:17], v[138:139] op_sel:[1,0,0] op_sel_hi:[0,0,1] neg_lo:[1,0,0] neg_hi:[1,0,0]
	v_pk_fma_f32 v[160:161], v[140:141], s[14:15], v[160:161] op_sel:[1,0,0] op_sel_hi:[0,0,1] neg_lo:[1,0,0] neg_hi:[1,0,0]
	v_pk_fma_f32 v[140:141], v[140:141], s[14:15], v[148:149] op_sel:[1,0,0] op_sel_hi:[0,0,1]
	v_pk_fma_f32 v[138:139], v[178:179], s[14:15], v[138:139] op_sel:[1,0,0] op_sel_hi:[0,0,1] neg_lo:[1,0,0] neg_hi:[1,0,0]
	v_pk_fma_f32 v[182:183], v[178:179], s[14:15], v[182:183] op_sel:[1,0,0] op_sel_hi:[0,0,1]
	v_mov_b32_e32 v148, v140
	v_mov_b32_e32 v149, v161
	;; [unrolled: 1-line block ×5, first 2 shown]
	v_pk_fma_f32 v[148:149], v[144:145], s[8:9], v[148:149] op_sel_hi:[1,0,1]
	v_pk_fma_f32 v[144:145], v[144:145], s[8:9], v[160:161] op_sel_hi:[1,0,1]
	v_mov_b32_e32 v139, v183
	v_pk_add_f32 v[140:141], v[146:147], v[152:153]
	v_pk_add_f32 v[160:161], v[142:143], v[156:157] neg_lo:[0,1] neg_hi:[0,1]
	v_pk_fma_f32 v[184:185], v[180:181], s[8:9], v[184:185] op_sel_hi:[1,0,1]
	v_pk_fma_f32 v[138:139], v[180:181], s[8:9], v[138:139] op_sel_hi:[1,0,1]
	v_pk_fma_f32 v[140:141], v[140:141], 0.5, v[162:163] op_sel_hi:[1,0,1] neg_lo:[1,0,0] neg_hi:[1,0,0]
	v_pk_mul_f32 v[164:165], v[160:161], s[16:17] op_sel_hi:[1,0]
	v_pk_add_f32 v[176:177], v[146:147], v[152:153] neg_lo:[0,1] neg_hi:[0,1]
	v_pk_add_f32 v[180:181], v[142:143], v[146:147] neg_lo:[0,1] neg_hi:[0,1]
	v_pk_add_f32 v[182:183], v[156:157], v[152:153] neg_lo:[0,1] neg_hi:[0,1]
	v_pk_mul_f32 v[178:179], v[176:177], s[14:15] op_sel_hi:[1,0]
	v_pk_add_f32 v[180:181], v[180:181], v[182:183]
	v_pk_add_f32 v[182:183], v[140:141], v[164:165] op_sel:[0,1] op_sel_hi:[1,0]
	v_pk_add_f32 v[140:141], v[140:141], v[164:165] op_sel:[0,1] op_sel_hi:[1,0] neg_lo:[0,1] neg_hi:[0,1]
	v_pk_add_f32 v[154:155], v[154:155], v[170:171]
	v_pk_add_f32 v[164:165], v[140:141], v[178:179] op_sel:[0,1] op_sel_hi:[1,0] neg_lo:[0,1] neg_hi:[0,1]
	v_pk_add_f32 v[178:179], v[182:183], v[178:179] op_sel:[0,1] op_sel_hi:[1,0]
	v_mov_b32_e32 v141, v165
	v_mov_b32_e32 v140, v178
	v_pk_fma_f32 v[182:183], v[180:181], s[8:9], v[140:141] op_sel_hi:[1,0,1]
	v_add_u32_e32 v140, 0x800, v9
	ds_write2_b64 v140, v[184:185], v[182:183] offset0:69 offset1:134
	v_pk_add_f32 v[182:183], v[142:143], v[156:157]
	v_pk_add_f32 v[142:143], v[146:147], v[142:143] neg_lo:[0,1] neg_hi:[0,1]
	v_pk_add_f32 v[146:147], v[152:153], v[156:157] neg_lo:[0,1] neg_hi:[0,1]
	v_pk_fma_f32 v[162:163], v[182:183], 0.5, v[162:163] op_sel_hi:[1,0,1] neg_lo:[1,0,0] neg_hi:[1,0,0]
	v_pk_add_f32 v[142:143], v[142:143], v[146:147]
	v_pk_mul_f32 v[146:147], v[176:177], s[16:17] op_sel_hi:[1,0]
	v_pk_mul_f32 v[152:153], v[160:161], s[14:15] op_sel_hi:[1,0]
	v_pk_add_f32 v[156:157], v[162:163], v[146:147] op_sel:[0,1] op_sel_hi:[1,0] neg_lo:[0,1] neg_hi:[0,1]
	v_pk_add_f32 v[146:147], v[162:163], v[146:147] op_sel:[0,1] op_sel_hi:[1,0]
	v_mov_b32_e32 v165, v179
	v_pk_add_f32 v[146:147], v[146:147], v[152:153] op_sel:[0,1] op_sel_hi:[1,0] neg_lo:[0,1] neg_hi:[0,1]
	v_pk_add_f32 v[152:153], v[156:157], v[152:153] op_sel:[0,1] op_sel_hi:[1,0]
	v_mov_b32_e32 v157, v147
	v_mov_b32_e32 v156, v152
	;; [unrolled: 1-line block ×3, first 2 shown]
	v_pk_fma_f32 v[156:157], v[142:143], s[8:9], v[156:157] op_sel_hi:[1,0,1]
	v_pk_fma_f32 v[142:143], v[142:143], s[8:9], v[146:147] op_sel_hi:[1,0,1]
	v_add_u32_e32 v141, 0x1000, v9
	ds_write2_b64 v8, v[144:145], v[142:143] offset0:79 offset1:144
	v_pk_fma_f32 v[144:145], v[180:181], s[8:9], v[164:165] op_sel_hi:[1,0,1]
	v_add_u32_e32 v142, 0x2800, v9
	v_pk_add_f32 v[172:173], v[166:167], v[170:171]
	ds_write2_b64 v141, v[148:149], v[156:157] offset0:138 offset1:203
	ds_write2_b64 v142, v[138:139], v[144:145] offset0:20 offset1:85
	;; [unrolled: 1-line block ×3, first 2 shown]
	v_pk_add_f32 v[114:115], v[168:169], v[158:159]
	v_pk_fma_f32 v[172:173], v[172:173], 0.5, v[112:113] op_sel_hi:[1,0,1] neg_lo:[1,0,0] neg_hi:[1,0,0]
	v_pk_fma_f32 v[112:113], v[114:115], 0.5, v[112:113] op_sel_hi:[1,0,1] neg_lo:[1,0,0] neg_hi:[1,0,0]
	v_pk_add_f32 v[114:115], v[168:169], v[158:159] neg_lo:[0,1] neg_hi:[0,1]
	v_pk_add_f32 v[144:145], v[166:167], v[168:169] neg_lo:[0,1] neg_hi:[0,1]
	;; [unrolled: 1-line block ×3, first 2 shown]
	v_pk_mul_f32 v[138:139], v[114:115], s[14:15] op_sel_hi:[1,0]
	v_pk_add_f32 v[144:145], v[144:145], v[146:147]
	v_pk_fma_f32 v[146:147], v[150:151], s[16:17], v[112:113] op_sel_hi:[1,0,1] neg_lo:[1,0,0] neg_hi:[1,0,0]
	v_pk_fma_f32 v[112:113], v[150:151], s[16:17], v[112:113] op_sel_hi:[1,0,1]
	v_pk_add_f32 v[146:147], v[146:147], v[138:139] op_sel:[0,1] op_sel_hi:[1,0] neg_lo:[0,1] neg_hi:[0,1]
	v_pk_add_f32 v[112:113], v[138:139], v[112:113] op_sel:[1,0] op_sel_hi:[0,1]
	v_pk_mul_f32 v[148:149], v[114:115], s[16:17] op_sel_hi:[1,0]
	v_mov_b32_e32 v114, v112
	v_mov_b32_e32 v115, v147
	;; [unrolled: 1-line block ×3, first 2 shown]
	v_pk_fma_f32 v[138:139], v[144:145], s[8:9], v[114:115] op_sel_hi:[1,0,1]
	v_pk_fma_f32 v[114:115], v[144:145], s[8:9], v[146:147] op_sel_hi:[1,0,1]
	v_pk_add_f32 v[112:113], v[172:173], v[148:149] op_sel:[0,1] op_sel_hi:[1,0]
	v_pk_add_f32 v[144:145], v[172:173], v[148:149] op_sel:[0,1] op_sel_hi:[1,0] neg_lo:[0,1] neg_hi:[0,1]
	v_pk_fma_f32 v[146:147], v[150:151], s[14:15], v[112:113] op_sel_hi:[1,0,1] neg_lo:[1,0,0] neg_hi:[1,0,0]
	v_pk_fma_f32 v[144:145], v[150:151], s[14:15], v[144:145] op_sel_hi:[1,0,1]
	v_mov_b32_e32 v112, v146
	v_mov_b32_e32 v113, v145
	v_mov_b32_e32 v145, v147
	ds_write_b64 v198, v[138:139] offset:3640
	v_pk_fma_f32 v[138:139], v[174:175], s[8:9], v[144:145] op_sel_hi:[1,0,1]
	v_pk_fma_f32 v[112:113], v[174:175], s[8:9], v[112:113] op_sel_hi:[1,0,1]
	ds_write_b64 v198, v[138:139] offset:6240
	ds_write_b64 v198, v[112:113] offset:8840
	;; [unrolled: 1-line block ×4, first 2 shown]
	v_add_co_u32_e32 v138, vcc, s0, v136
	ds_write_b64 v198, v[118:119] offset:4160
	ds_write_b64 v198, v[124:125] offset:6760
	v_addc_co_u32_e32 v139, vcc, 0, v137, vcc
	ds_write_b64 v198, v[126:127] offset:9360
	ds_write_b64 v198, v[120:121] offset:11960
	;; [unrolled: 1-line block ×7, first 2 shown]
	s_waitcnt lgkmcnt(0)
	s_barrier
	global_load_dwordx2 v[148:149], v[138:139], off offset:712
	s_mov_b64 s[0:1], 0x32c8
	v_lshl_add_u64 v[138:139], v[136:137], 0, s[0:1]
	global_load_dwordx2 v[152:153], v[138:139], off offset:1000
	global_load_dwordx2 v[154:155], v[138:139], off offset:2000
	;; [unrolled: 1-line block ×4, first 2 shown]
	s_movk_i32 s0, 0x4000
	v_add_co_u32_e32 v144, vcc, s0, v136
	s_movk_i32 s0, 0x5000
	s_nop 0
	v_addc_co_u32_e32 v145, vcc, 0, v137, vcc
	global_load_dwordx2 v[160:161], v[144:145], off offset:1616
	global_load_dwordx2 v[162:163], v[144:145], off offset:2616
	;; [unrolled: 1-line block ×3, first 2 shown]
	v_add_co_u32_e32 v144, vcc, s0, v136
	v_add_u32_e32 v143, 0x400, v198
	s_nop 0
	v_addc_co_u32_e32 v145, vcc, 0, v137, vcc
	global_load_dwordx2 v[166:167], v[144:145], off offset:520
	global_load_dwordx2 v[168:169], v[144:145], off offset:1520
	global_load_dwordx2 v[170:171], v[144:145], off offset:2520
	global_load_dwordx2 v[172:173], v[144:145], off offset:3520
	v_add_co_u32_e32 v136, vcc, 0x6000, v136
	ds_read2_b64 v[144:147], v198 offset1:125
	s_nop 0
	v_addc_co_u32_e32 v137, vcc, 0, v137, vcc
	global_load_dwordx2 v[136:137], v[136:137], off offset:424
	v_accvgpr_write_b32 a49, v119
	v_accvgpr_write_b32 a55, v125
	;; [unrolled: 1-line block ×13, first 2 shown]
	s_movk_i32 s9, 0x1000
	s_movk_i32 s8, 0x2000
	s_waitcnt vmcnt(12) lgkmcnt(0)
	v_mul_f32_e32 v8, v145, v149
	v_mul_f32_e32 v175, v144, v149
	v_fma_f32 v174, v144, v148, -v8
	v_fmac_f32_e32 v175, v145, v148
	ds_read2_b64 v[148:151], v143 offset0:122 offset1:247
	s_waitcnt vmcnt(11)
	v_mul_f32_e32 v8, v147, v153
	v_mul_f32_e32 v145, v146, v153
	v_fma_f32 v144, v146, v152, -v8
	v_fmac_f32_e32 v145, v147, v152
	ds_write2_b64 v198, v[174:175], v[144:145] offset1:125
	s_waitcnt vmcnt(10) lgkmcnt(1)
	v_mul_f32_e32 v8, v149, v155
	v_mul_f32_e32 v147, v148, v155
	v_add_u32_e32 v144, 0xc00, v198
	v_fma_f32 v146, v148, v154, -v8
	v_fmac_f32_e32 v147, v149, v154
	ds_read2_b64 v[152:155], v144 offset0:116 offset1:241
	s_waitcnt vmcnt(9)
	v_mul_f32_e32 v8, v151, v157
	v_mul_f32_e32 v149, v150, v157
	v_fma_f32 v148, v150, v156, -v8
	v_fmac_f32_e32 v149, v151, v156
	ds_write2_b64 v143, v[146:147], v[148:149] offset0:122 offset1:247
	s_waitcnt vmcnt(8) lgkmcnt(1)
	v_mul_f32_e32 v8, v153, v159
	v_mul_f32_e32 v147, v152, v159
	v_add_u32_e32 v148, 0x1400, v198
	v_fma_f32 v146, v152, v158, -v8
	v_fmac_f32_e32 v147, v153, v158
	s_waitcnt vmcnt(7)
	v_mul_f32_e32 v8, v155, v161
	ds_read2_b64 v[150:153], v148 offset0:110 offset1:235
	v_mul_f32_e32 v157, v154, v161
	v_fma_f32 v156, v154, v160, -v8
	v_fmac_f32_e32 v157, v155, v160
	v_add_u32_e32 v149, 0x1c00, v198
	ds_write2_b64 v144, v[146:147], v[156:157] offset0:116 offset1:241
	ds_read2_b64 v[156:159], v149 offset0:104 offset1:229
	s_waitcnt vmcnt(6) lgkmcnt(2)
	v_mul_f32_e32 v8, v151, v163
	v_mul_f32_e32 v147, v150, v163
	v_fma_f32 v146, v150, v162, -v8
	v_fmac_f32_e32 v147, v151, v162
	s_waitcnt vmcnt(5)
	v_mul_f32_e32 v8, v153, v165
	v_mul_f32_e32 v151, v152, v165
	v_fma_f32 v150, v152, v164, -v8
	v_fmac_f32_e32 v151, v153, v164
	s_waitcnt vmcnt(4) lgkmcnt(0)
	v_mul_f32_e32 v8, v157, v167
	ds_write2_b64 v148, v[146:147], v[150:151] offset0:110 offset1:235
	v_fma_f32 v146, v156, v166, -v8
	v_mul_f32_e32 v147, v156, v167
	v_add_u32_e32 v156, 0x2400, v198
	ds_read2_b64 v[150:153], v156 offset0:98 offset1:223
	s_waitcnt vmcnt(3)
	v_mul_f32_e32 v8, v159, v169
	v_mul_f32_e32 v155, v158, v169
	v_fmac_f32_e32 v147, v157, v166
	v_fma_f32 v154, v158, v168, -v8
	v_fmac_f32_e32 v155, v159, v168
	ds_write2_b64 v149, v[146:147], v[154:155] offset0:104 offset1:229
	s_waitcnt vmcnt(2) lgkmcnt(1)
	v_mul_f32_e32 v8, v151, v171
	v_mul_f32_e32 v147, v150, v171
	v_fma_f32 v146, v150, v170, -v8
	v_fmac_f32_e32 v147, v151, v170
	ds_read_b64 v[150:151], v198 offset:12000
	s_waitcnt vmcnt(1)
	v_mul_f32_e32 v8, v153, v173
	v_mul_f32_e32 v155, v152, v173
	v_fma_f32 v154, v152, v172, -v8
	v_fmac_f32_e32 v155, v153, v172
	ds_write2_b64 v156, v[146:147], v[154:155] offset0:98 offset1:223
	s_waitcnt vmcnt(0) lgkmcnt(1)
	v_mul_f32_e32 v8, v151, v137
	v_mul_f32_e32 v147, v150, v137
	v_fma_f32 v146, v150, v136, -v8
	v_fmac_f32_e32 v147, v151, v136
	ds_write_b64 v198, v[146:147] offset:12000
	s_and_saveexec_b64 s[0:1], s[2:3]
	s_cbranch_execz .LBB0_9
; %bb.8:
	v_add_co_u32_e32 v136, vcc, s9, v138
	global_load_dwordx2 v[146:147], v[138:139], off offset:520
	global_load_dwordx2 v[154:155], v[138:139], off offset:1520
	;; [unrolled: 1-line block ×4, first 2 shown]
	v_addc_co_u32_e32 v137, vcc, 0, v139, vcc
	global_load_dwordx2 v[178:179], v[136:137], off offset:424
	global_load_dwordx2 v[180:181], v[136:137], off offset:1424
	;; [unrolled: 1-line block ×4, first 2 shown]
	v_add_co_u32_e32 v136, vcc, s8, v138
	v_accvgpr_read_b32 v122, a23
	s_nop 0
	v_addc_co_u32_e32 v137, vcc, 0, v139, vcc
	global_load_dwordx2 v[186:187], v[136:137], off offset:328
	global_load_dwordx2 v[188:189], v[136:137], off offset:1328
	;; [unrolled: 1-line block ×4, first 2 shown]
	v_add_co_u32_e32 v136, vcc, 0x3000, v138
	v_add_u32_e32 v8, 0x1800, v122
	s_nop 0
	v_addc_co_u32_e32 v137, vcc, 0, v139, vcc
	global_load_dwordx2 v[194:195], v[136:137], off offset:232
	ds_read2_b64 v[136:139], v122 offset0:65 offset1:190
	ds_read2_b64 v[150:153], v140 offset0:59 offset1:184
	;; [unrolled: 1-line block ×3, first 2 shown]
	v_add_u32_e32 v9, 0x2000, v122
	ds_read2_b64 v[162:165], v142 offset0:35 offset1:160
	ds_read2_b64 v[166:169], v8 offset0:47 offset1:172
	;; [unrolled: 1-line block ×3, first 2 shown]
	s_waitcnt vmcnt(12) lgkmcnt(5)
	v_mul_f32_e32 v10, v137, v147
	v_mul_f32_e32 v197, v136, v147
	s_waitcnt vmcnt(11)
	v_mul_f32_e32 v11, v139, v155
	v_mul_f32_e32 v147, v138, v155
	s_waitcnt vmcnt(10) lgkmcnt(4)
	v_mul_f32_e32 v116, v151, v175
	v_mul_f32_e32 v155, v150, v175
	s_waitcnt vmcnt(9)
	v_mul_f32_e32 v117, v153, v177
	v_mul_f32_e32 v175, v152, v177
	v_fma_f32 v196, v136, v146, -v10
	v_fmac_f32_e32 v197, v137, v146
	v_fma_f32 v146, v138, v154, -v11
	v_fmac_f32_e32 v147, v139, v154
	s_waitcnt vmcnt(8) lgkmcnt(3)
	v_mul_f32_e32 v10, v159, v179
	v_mul_f32_e32 v137, v158, v179
	s_waitcnt vmcnt(7)
	v_mul_f32_e32 v11, v161, v181
	v_mul_f32_e32 v139, v160, v181
	v_fma_f32 v154, v150, v174, -v116
	v_fmac_f32_e32 v155, v151, v174
	v_fma_f32 v174, v152, v176, -v117
	v_fmac_f32_e32 v175, v153, v176
	s_waitcnt vmcnt(6) lgkmcnt(1)
	v_mul_f32_e32 v116, v167, v183
	v_mul_f32_e32 v151, v166, v183
	s_waitcnt vmcnt(5)
	v_mul_f32_e32 v117, v169, v185
	v_mul_f32_e32 v153, v168, v185
	s_waitcnt vmcnt(4) lgkmcnt(0)
	v_mul_f32_e32 v118, v171, v187
	v_mul_f32_e32 v177, v170, v187
	s_waitcnt vmcnt(3)
	v_mul_f32_e32 v119, v173, v189
	v_mul_f32_e32 v179, v172, v189
	v_fma_f32 v136, v158, v178, -v10
	v_fmac_f32_e32 v137, v159, v178
	v_fma_f32 v138, v160, v180, -v11
	v_fmac_f32_e32 v139, v161, v180
	ds_write2_b64 v122, v[196:197], v[146:147] offset0:65 offset1:190
	ds_write2_b64 v140, v[154:155], v[174:175] offset0:59 offset1:184
	v_fma_f32 v150, v166, v182, -v116
	v_fmac_f32_e32 v151, v167, v182
	v_fma_f32 v152, v168, v184, -v117
	v_fmac_f32_e32 v153, v169, v184
	;; [unrolled: 2-line block ×4, first 2 shown]
	ds_write2_b64 v141, v[136:137], v[138:139] offset0:53 offset1:178
	ds_write2_b64 v8, v[150:151], v[152:153] offset0:47 offset1:172
	;; [unrolled: 1-line block ×3, first 2 shown]
	ds_read_b64 v[136:137], v122 offset:12520
	s_waitcnt vmcnt(2)
	v_mul_f32_e32 v120, v163, v191
	v_mul_f32_e32 v181, v162, v191
	s_waitcnt vmcnt(1)
	v_mul_f32_e32 v121, v165, v193
	v_mul_f32_e32 v139, v164, v193
	v_fma_f32 v180, v162, v190, -v120
	v_fmac_f32_e32 v181, v163, v190
	v_fma_f32 v138, v164, v192, -v121
	v_fmac_f32_e32 v139, v165, v192
	ds_write2_b64 v142, v[180:181], v[138:139] offset0:35 offset1:160
	s_waitcnt vmcnt(0) lgkmcnt(1)
	v_mul_f32_e32 v8, v137, v195
	v_mul_f32_e32 v139, v136, v195
	v_fma_f32 v138, v136, v194, -v8
	v_fmac_f32_e32 v139, v137, v194
	ds_write_b64 v122, v[138:139] offset:12520
.LBB0_9:
	s_or_b64 exec, exec, s[0:1]
	s_waitcnt lgkmcnt(0)
	s_barrier
	ds_read2_b64 v[136:139], v198 offset1:125
	ds_read2_b64 v[152:155], v143 offset0:122 offset1:247
	ds_read2_b64 v[144:147], v144 offset0:116 offset1:241
	;; [unrolled: 1-line block ×5, first 2 shown]
	ds_read_b64 v[160:161], v198 offset:12000
	v_accvgpr_write_b32 a38, v200
	v_accvgpr_write_b32 a39, v201
	;; [unrolled: 1-line block ×4, first 2 shown]
	s_and_saveexec_b64 s[0:1], s[2:3]
	s_cbranch_execz .LBB0_11
; %bb.10:
	v_accvgpr_read_b32 v9, a23
	v_add_u32_e32 v8, 0x800, v9
	ds_read2_b64 a[46:49], v8 offset0:59 offset1:184
	v_add_u32_e32 v8, 0x1000, v9
	ds_read2_b64 a[54:57], v8 offset0:53 offset1:178
	;; [unrolled: 2-line block ×5, first 2 shown]
	ds_read2_b64 a[62:65], v8 offset0:35 offset1:160
	ds_read_b64 a[42:43], v9 offset:12520
.LBB0_11:
	s_or_b64 exec, exec, s[0:1]
	s_waitcnt lgkmcnt(6)
	v_pk_add_f32 v[162:163], v[136:137], v[138:139]
	s_waitcnt lgkmcnt(0)
	v_pk_add_f32 v[176:177], v[138:139], v[160:161] neg_lo:[0,1] neg_hi:[0,1]
	v_pk_add_f32 v[162:163], v[162:163], v[152:153]
	s_mov_b32 s42, 0xbeedf032
	v_pk_add_f32 v[162:163], v[162:163], v[154:155]
	v_pk_add_f32 v[164:165], v[160:161], v[138:139]
	;; [unrolled: 1-line block ×3, first 2 shown]
	s_mov_b32 s0, 0x3f62ad3f
	v_pk_add_f32 v[162:163], v[162:163], v[146:147]
	v_pk_mul_f32 v[138:139], v[176:177], s[42:43] op_sel_hi:[1,0]
	v_pk_add_f32 v[162:163], v[162:163], v[140:141]
	v_pk_add_f32 v[180:181], v[152:153], v[158:159] neg_lo:[0,1] neg_hi:[0,1]
	s_mov_b32 s22, 0xbf52af12
	v_pk_add_f32 v[162:163], v[162:163], v[142:143]
	v_pk_fma_f32 v[8:9], v[164:165], s[0:1], v[138:139] op_sel:[0,0,1] op_sel_hi:[1,0,0]
	v_pk_fma_f32 v[214:215], v[164:165], s[0:1], v[138:139] op_sel:[0,0,1] op_sel_hi:[1,0,0] neg_lo:[0,0,1] neg_hi:[0,0,1]
	v_pk_add_f32 v[178:179], v[158:159], v[152:153]
	s_mov_b32 s8, 0x3f116cb1
	v_pk_mul_f32 v[152:153], v[180:181], s[22:23] op_sel_hi:[1,0]
	v_pk_add_f32 v[162:163], v[162:163], v[148:149]
	v_mov_b32_e32 v138, v8
	v_accvgpr_write_b32 a69, v9
	v_mov_b32_e32 v139, v215
	v_pk_fma_f32 v[8:9], v[178:179], s[8:9], v[152:153] op_sel:[0,0,1] op_sel_hi:[1,0,0]
	v_pk_fma_f32 v[212:213], v[178:179], s[8:9], v[152:153] op_sel:[0,0,1] op_sel_hi:[1,0,0] neg_lo:[0,0,1] neg_hi:[0,0,1]
	v_pk_add_f32 v[162:163], v[162:163], v[150:151]
	v_pk_add_f32 v[138:139], v[136:137], v[138:139]
	v_mov_b32_e32 v152, v8
	v_mov_b32_e32 v153, v213
	v_pk_add_f32 v[186:187], v[154:155], v[156:157] neg_lo:[0,1] neg_hi:[0,1]
	s_mov_b32 s30, 0xbf7e222b
	v_pk_add_f32 v[162:163], v[162:163], v[156:157]
	v_pk_add_f32 v[138:139], v[152:153], v[138:139]
	;; [unrolled: 1-line block ×3, first 2 shown]
	s_mov_b32 s12, 0x3df6dbef
	v_pk_mul_f32 v[152:153], v[186:187], s[30:31] op_sel_hi:[1,0]
	v_pk_add_f32 v[192:193], v[144:145], v[150:151] neg_lo:[0,1] neg_hi:[0,1]
	s_mov_b32 s16, 0xbf6f5d39
	v_pk_add_f32 v[162:163], v[162:163], v[158:159]
	v_accvgpr_write_b32 a45, v9
	v_pk_fma_f32 v[8:9], v[184:185], s[12:13], v[152:153] op_sel:[0,0,1] op_sel_hi:[1,0,0]
	v_pk_fma_f32 v[190:191], v[184:185], s[12:13], v[152:153] op_sel:[0,0,1] op_sel_hi:[1,0,0] neg_lo:[0,0,1] neg_hi:[0,0,1]
	v_pk_add_f32 v[188:189], v[150:151], v[144:145]
	s_mov_b32 s14, 0xbeb58ec6
	v_pk_mul_f32 v[144:145], v[192:193], s[16:17] op_sel_hi:[1,0]
	v_pk_add_f32 v[162:163], v[162:163], v[160:161]
	v_mov_b32_e32 v152, v8
	v_accvgpr_write_b32 a67, v9
	v_mov_b32_e32 v153, v191
	v_pk_fma_f32 v[8:9], v[188:189], s[14:15], v[144:145] op_sel:[0,0,1] op_sel_hi:[1,0,0]
	v_pk_fma_f32 v[160:161], v[188:189], s[14:15], v[144:145] op_sel:[0,0,1] op_sel_hi:[1,0,0] neg_lo:[0,0,1] neg_hi:[0,0,1]
	v_pk_add_f32 v[138:139], v[152:153], v[138:139]
	v_mov_b32_e32 v144, v8
	v_mov_b32_e32 v145, v161
	v_pk_add_f32 v[244:245], v[146:147], v[148:149] neg_lo:[0,1] neg_hi:[0,1]
	s_mov_b32 s20, 0xbf29c268
	v_pk_add_f32 v[138:139], v[144:145], v[138:139]
	v_pk_add_f32 v[242:243], v[148:149], v[146:147]
	s_mov_b32 s18, 0xbf3f9e67
	v_pk_mul_f32 v[144:145], v[244:245], s[20:21] op_sel_hi:[1,0]
	v_pk_add_f32 v[250:251], v[140:141], v[142:143] neg_lo:[0,1] neg_hi:[0,1]
	s_mov_b32 s26, 0xbe750f2a
	v_accvgpr_write_b32 a71, v9
	v_pk_fma_f32 v[8:9], v[242:243], s[18:19], v[144:145] op_sel:[0,0,1] op_sel_hi:[1,0,0]
	v_pk_fma_f32 v[172:173], v[242:243], s[18:19], v[144:145] op_sel:[0,0,1] op_sel_hi:[1,0,0] neg_lo:[0,0,1] neg_hi:[0,0,1]
	v_pk_add_f32 v[248:249], v[142:143], v[140:141]
	s_mov_b32 s24, 0xbf788fa5
	v_pk_mul_f32 v[140:141], v[250:251], s[26:27] op_sel_hi:[1,0]
	v_mov_b32_e32 v144, v8
	v_accvgpr_write_b32 a73, v9
	v_mov_b32_e32 v145, v173
	v_pk_fma_f32 v[8:9], v[248:249], s[24:25], v[140:141] op_sel:[0,0,1] op_sel_hi:[1,0,0]
	v_pk_fma_f32 v[182:183], v[248:249], s[24:25], v[140:141] op_sel:[0,0,1] op_sel_hi:[1,0,0] neg_lo:[0,0,1] neg_hi:[0,0,1]
	v_pk_add_f32 v[138:139], v[144:145], v[138:139]
	v_mov_b32_e32 v140, v8
	v_mov_b32_e32 v141, v183
	v_pk_add_f32 v[138:139], v[140:141], v[138:139]
	s_barrier
	ds_write2_b64 v238, v[162:163], v[138:139] offset1:1
	v_pk_mul_f32 v[138:139], v[176:177], s[22:23] op_sel_hi:[1,0]
	v_pk_mul_f32 v[140:141], v[180:181], s[16:17] op_sel_hi:[1,0]
	v_pk_fma_f32 v[144:145], v[164:165], s[8:9], v[138:139] op_sel:[0,0,1] op_sel_hi:[1,0,0]
	v_pk_fma_f32 v[146:147], v[164:165], s[8:9], v[138:139] op_sel:[0,0,1] op_sel_hi:[1,0,0] neg_lo:[0,0,1] neg_hi:[0,0,1]
	v_mov_b32_e32 v138, v144
	v_mov_b32_e32 v139, v147
	v_pk_fma_f32 v[148:149], v[178:179], s[14:15], v[140:141] op_sel:[0,0,1] op_sel_hi:[1,0,0]
	v_pk_fma_f32 v[202:203], v[178:179], s[14:15], v[140:141] op_sel:[0,0,1] op_sel_hi:[1,0,0] neg_lo:[0,0,1] neg_hi:[0,0,1]
	v_pk_add_f32 v[138:139], v[136:137], v[138:139]
	v_mov_b32_e32 v140, v148
	v_mov_b32_e32 v141, v203
	v_pk_add_f32 v[138:139], v[140:141], v[138:139]
	v_pk_mul_f32 v[140:141], v[186:187], s[26:27] op_sel_hi:[1,0]
	s_mov_b32 s36, 0x3f29c268
	v_pk_fma_f32 v[152:153], v[184:185], s[24:25], v[140:141] op_sel:[0,0,1] op_sel_hi:[1,0,0]
	v_pk_fma_f32 v[150:151], v[184:185], s[24:25], v[140:141] op_sel:[0,0,1] op_sel_hi:[1,0,0] neg_lo:[0,0,1] neg_hi:[0,0,1]
	v_mov_b32_e32 v140, v152
	v_mov_b32_e32 v141, v151
	v_pk_add_f32 v[138:139], v[140:141], v[138:139]
	v_pk_mul_f32 v[140:141], v[192:193], s[36:37] op_sel_hi:[1,0]
	s_mov_b32 s28, 0x3f7e222b
	v_pk_fma_f32 v[158:159], v[188:189], s[18:19], v[140:141] op_sel:[0,0,1] op_sel_hi:[1,0,0]
	v_pk_fma_f32 v[154:155], v[188:189], s[18:19], v[140:141] op_sel:[0,0,1] op_sel_hi:[1,0,0] neg_lo:[0,0,1] neg_hi:[0,0,1]
	;; [unrolled: 7-line block ×3, first 2 shown]
	v_mov_b32_e32 v140, v210
	v_mov_b32_e32 v141, v195
	v_pk_add_f32 v[138:139], v[140:141], v[138:139]
	v_pk_mul_f32 v[140:141], v[250:251], s[34:35] op_sel_hi:[1,0]
	v_accvgpr_write_b32 a77, v9
	v_pk_fma_f32 v[8:9], v[248:249], s[0:1], v[140:141] op_sel:[0,0,1] op_sel_hi:[1,0,0]
	v_pk_fma_f32 v[156:157], v[248:249], s[0:1], v[140:141] op_sel:[0,0,1] op_sel_hi:[1,0,0] neg_lo:[0,0,1] neg_hi:[0,0,1]
	v_mov_b32_e32 v140, v8
	v_mov_b32_e32 v141, v157
	v_pk_add_f32 v[162:163], v[140:141], v[138:139]
	v_pk_mul_f32 v[138:139], v[176:177], s[30:31] op_sel_hi:[1,0]
	v_pk_mul_f32 v[140:141], v[180:181], s[26:27] op_sel_hi:[1,0]
	v_pk_fma_f32 v[240:241], v[164:165], s[12:13], v[138:139] op_sel:[0,0,1] op_sel_hi:[1,0,0]
	v_pk_fma_f32 v[228:229], v[164:165], s[12:13], v[138:139] op_sel:[0,0,1] op_sel_hi:[1,0,0] neg_lo:[0,0,1] neg_hi:[0,0,1]
	v_mov_b32_e32 v138, v240
	v_mov_b32_e32 v139, v229
	v_pk_fma_f32 v[222:223], v[178:179], s[24:25], v[140:141] op_sel:[0,0,1] op_sel_hi:[1,0,0]
	v_pk_fma_f32 v[234:235], v[178:179], s[24:25], v[140:141] op_sel:[0,0,1] op_sel_hi:[1,0,0] neg_lo:[0,0,1] neg_hi:[0,0,1]
	v_pk_add_f32 v[138:139], v[136:137], v[138:139]
	v_mov_b32_e32 v140, v222
	v_mov_b32_e32 v141, v235
	s_mov_b32 s44, 0x3f6f5d39
	v_pk_add_f32 v[138:139], v[140:141], v[138:139]
	v_pk_mul_f32 v[140:141], v[186:187], s[44:45] op_sel_hi:[1,0]
	v_pk_mul_f32 v[196:197], v[192:193], s[30:31] op_sel_hi:[1,0]
	v_pk_fma_f32 v[232:233], v[184:185], s[14:15], v[140:141] op_sel:[0,0,1] op_sel_hi:[1,0,0]
	v_pk_fma_f32 v[224:225], v[184:185], s[14:15], v[140:141] op_sel:[0,0,1] op_sel_hi:[1,0,0] neg_lo:[0,0,1] neg_hi:[0,0,1]
	v_mov_b32_e32 v140, v232
	v_mov_b32_e32 v141, v225
	v_pk_add_f32 v[138:139], v[140:141], v[138:139]
	v_pk_mul_f32 v[140:141], v[192:193], s[34:35] op_sel_hi:[1,0]
	s_mov_b32 s40, 0x3e750f2a
	v_pk_fma_f32 v[122:123], v[188:189], s[0:1], v[140:141] op_sel:[0,0,1] op_sel_hi:[1,0,0]
	v_pk_fma_f32 v[220:221], v[188:189], s[0:1], v[140:141] op_sel:[0,0,1] op_sel_hi:[1,0,0] neg_lo:[0,0,1] neg_hi:[0,0,1]
	v_mov_b32_e32 v140, v122
	v_mov_b32_e32 v141, v221
	v_pk_add_f32 v[138:139], v[140:141], v[138:139]
	v_pk_mul_f32 v[140:141], v[244:245], s[22:23] op_sel_hi:[1,0]
	v_mov_b32_e32 v122, v238
	v_pk_fma_f32 v[142:143], v[242:243], s[8:9], v[140:141] op_sel:[0,0,1] op_sel_hi:[1,0,0]
	v_pk_fma_f32 v[206:207], v[242:243], s[8:9], v[140:141] op_sel:[0,0,1] op_sel_hi:[1,0,0] neg_lo:[0,0,1] neg_hi:[0,0,1]
	v_mov_b32_e32 v140, v142
	v_mov_b32_e32 v141, v207
	v_pk_add_f32 v[166:167], v[140:141], v[138:139]
	v_pk_mul_f32 v[140:141], v[250:251], s[20:21] op_sel_hi:[1,0]
	v_pk_mul_f32 v[204:205], v[244:245], s[40:41] op_sel_hi:[1,0]
	v_pk_fma_f32 v[138:139], v[248:249], s[18:19], v[140:141] op_sel:[0,0,1] op_sel_hi:[1,0,0]
	v_pk_fma_f32 v[140:141], v[248:249], s[18:19], v[140:141] op_sel:[0,0,1] op_sel_hi:[1,0,0] neg_lo:[0,0,1] neg_hi:[0,0,1]
	v_mov_b32_e32 v168, v138
	v_mov_b32_e32 v169, v141
	v_pk_add_f32 v[166:167], v[168:169], v[166:167]
	ds_write2_b64 v238, v[162:163], v[166:167] offset0:2 offset1:3
	v_pk_mul_f32 v[162:163], v[176:177], s[16:17] op_sel_hi:[1,0]
	v_pk_mul_f32 v[166:167], v[180:181], s[36:37] op_sel_hi:[1,0]
	v_pk_fma_f32 v[170:171], v[164:165], s[14:15], v[162:163] op_sel:[0,0,1] op_sel_hi:[1,0,0]
	v_pk_fma_f32 v[174:175], v[164:165], s[14:15], v[162:163] op_sel:[0,0,1] op_sel_hi:[1,0,0] neg_lo:[0,0,1] neg_hi:[0,0,1]
	v_mov_b32_e32 v162, v170
	v_mov_b32_e32 v163, v175
	v_pk_fma_f32 v[246:247], v[178:179], s[18:19], v[166:167] op_sel:[0,0,1] op_sel_hi:[1,0,0]
	v_pk_fma_f32 v[238:239], v[178:179], s[18:19], v[166:167] op_sel:[0,0,1] op_sel_hi:[1,0,0] neg_lo:[0,0,1] neg_hi:[0,0,1]
	v_pk_add_f32 v[162:163], v[136:137], v[162:163]
	v_mov_b32_e32 v166, v246
	v_mov_b32_e32 v167, v239
	v_pk_add_f32 v[162:163], v[166:167], v[162:163]
	v_pk_mul_f32 v[166:167], v[186:187], s[34:35] op_sel_hi:[1,0]
	s_mov_b32 s38, 0x3f52af12
	v_pk_fma_f32 v[236:237], v[184:185], s[0:1], v[166:167] op_sel:[0,0,1] op_sel_hi:[1,0,0]
	v_pk_fma_f32 v[168:169], v[184:185], s[0:1], v[166:167] op_sel:[0,0,1] op_sel_hi:[1,0,0] neg_lo:[0,0,1] neg_hi:[0,0,1]
	v_mov_b32_e32 v166, v236
	v_mov_b32_e32 v167, v169
	v_pk_add_f32 v[162:163], v[166:167], v[162:163]
	v_pk_fma_f32 v[166:167], v[188:189], s[12:13], v[196:197] op_sel:[0,0,1] op_sel_hi:[1,0,0]
	v_pk_fma_f32 v[196:197], v[188:189], s[12:13], v[196:197] op_sel:[0,0,1] op_sel_hi:[1,0,0] neg_lo:[0,0,1] neg_hi:[0,0,1]
	v_mov_b32_e32 v200, v166
	v_mov_b32_e32 v201, v197
	v_pk_add_f32 v[162:163], v[200:201], v[162:163]
	v_pk_fma_f32 v[200:201], v[242:243], s[24:25], v[204:205] op_sel:[0,0,1] op_sel_hi:[1,0,0]
	v_pk_fma_f32 v[204:205], v[242:243], s[24:25], v[204:205] op_sel:[0,0,1] op_sel_hi:[1,0,0] neg_lo:[0,0,1] neg_hi:[0,0,1]
	v_mov_b32_e32 v208, v200
	v_mov_b32_e32 v209, v205
	v_pk_mul_f32 v[230:231], v[250:251], s[38:39] op_sel_hi:[1,0]
	v_pk_add_f32 v[162:163], v[208:209], v[162:163]
	v_pk_fma_f32 v[208:209], v[248:249], s[8:9], v[230:231] op_sel:[0,0,1] op_sel_hi:[1,0,0]
	v_pk_fma_f32 v[230:231], v[248:249], s[8:9], v[230:231] op_sel:[0,0,1] op_sel_hi:[1,0,0] neg_lo:[0,0,1] neg_hi:[0,0,1]
	v_mov_b32_e32 v252, v208
	v_mov_b32_e32 v253, v231
	v_pk_add_f32 v[162:163], v[252:253], v[162:163]
	v_pk_mul_f32 v[252:253], v[176:177], s[20:21] op_sel_hi:[1,0]
	v_pk_mul_f32 v[216:217], v[180:181], s[28:29] op_sel_hi:[1,0]
	v_pk_fma_f32 v[120:121], v[164:165], s[18:19], v[252:253] op_sel:[0,0,1] op_sel_hi:[1,0,0]
	v_pk_fma_f32 v[252:253], v[164:165], s[18:19], v[252:253] op_sel:[0,0,1] op_sel_hi:[1,0,0] neg_lo:[0,0,1] neg_hi:[0,0,1]
	v_mov_b32_e32 v254, v120
	v_mov_b32_e32 v255, v253
	v_pk_fma_f32 v[116:117], v[178:179], s[12:13], v[216:217] op_sel:[0,0,1] op_sel_hi:[1,0,0]
	v_pk_fma_f32 v[216:217], v[178:179], s[12:13], v[216:217] op_sel:[0,0,1] op_sel_hi:[1,0,0] neg_lo:[0,0,1] neg_hi:[0,0,1]
	v_pk_add_f32 v[254:255], v[136:137], v[254:255]
	v_mov_b32_e32 v218, v116
	v_mov_b32_e32 v219, v217
	v_pk_add_f32 v[118:119], v[218:219], v[254:255]
	v_pk_mul_f32 v[218:219], v[186:187], s[22:23] op_sel_hi:[1,0]
	v_pk_mul_f32 v[126:127], v[192:193], s[40:41] op_sel_hi:[1,0]
	v_pk_fma_f32 v[124:125], v[184:185], s[8:9], v[218:219] op_sel:[0,0,1] op_sel_hi:[1,0,0]
	v_pk_fma_f32 v[218:219], v[184:185], s[8:9], v[218:219] op_sel:[0,0,1] op_sel_hi:[1,0,0] neg_lo:[0,0,1] neg_hi:[0,0,1]
	v_mov_b32_e32 v254, v124
	v_mov_b32_e32 v255, v219
	v_pk_fma_f32 v[128:129], v[188:189], s[24:25], v[126:127] op_sel:[0,0,1] op_sel_hi:[1,0,0]
	v_pk_fma_f32 v[126:127], v[188:189], s[24:25], v[126:127] op_sel:[0,0,1] op_sel_hi:[1,0,0] neg_lo:[0,0,1] neg_hi:[0,0,1]
	v_pk_mul_f32 v[130:131], v[244:245], s[34:35] op_sel_hi:[1,0]
	v_pk_add_f32 v[118:119], v[254:255], v[118:119]
	v_mov_b32_e32 v254, v128
	v_mov_b32_e32 v255, v127
	v_pk_fma_f32 v[132:133], v[242:243], s[0:1], v[130:131] op_sel:[0,0,1] op_sel_hi:[1,0,0]
	v_pk_fma_f32 v[130:131], v[242:243], s[0:1], v[130:131] op_sel:[0,0,1] op_sel_hi:[1,0,0] neg_lo:[0,0,1] neg_hi:[0,0,1]
	v_pk_mul_f32 v[134:135], v[250:251], s[16:17] op_sel_hi:[1,0]
	v_mov_b32_e32 v161, v9
	v_pk_add_f32 v[118:119], v[254:255], v[118:119]
	v_mov_b32_e32 v254, v132
	v_mov_b32_e32 v255, v131
	v_pk_fma_f32 v[8:9], v[248:249], s[14:15], v[134:135] op_sel:[0,0,1] op_sel_hi:[1,0,0]
	v_pk_fma_f32 v[134:135], v[248:249], s[14:15], v[134:135] op_sel:[0,0,1] op_sel_hi:[1,0,0] neg_lo:[0,0,1] neg_hi:[0,0,1]
	v_pk_add_f32 v[118:119], v[254:255], v[118:119]
	v_mov_b32_e32 v254, v8
	v_mov_b32_e32 v255, v135
	v_pk_add_f32 v[10:11], v[254:255], v[118:119]
	ds_write2_b64 v122, v[162:163], v[10:11] offset0:4 offset1:5
	v_pk_mul_f32 v[10:11], v[176:177], s[26:27] op_sel_hi:[1,0]
	v_pk_mul_f32 v[162:163], v[180:181], s[34:35] op_sel_hi:[1,0]
	v_pk_fma_f32 v[118:119], v[164:165], s[24:25], v[10:11] op_sel:[0,0,1] op_sel_hi:[1,0,0]
	v_pk_fma_f32 v[10:11], v[164:165], s[24:25], v[10:11] op_sel:[0,0,1] op_sel_hi:[1,0,0] neg_lo:[0,0,1] neg_hi:[0,0,1]
	v_pk_fma_f32 v[164:165], v[178:179], s[0:1], v[162:163] op_sel:[0,0,1] op_sel_hi:[1,0,0]
	v_pk_fma_f32 v[162:163], v[178:179], s[0:1], v[162:163] op_sel:[0,0,1] op_sel_hi:[1,0,0] neg_lo:[0,0,1] neg_hi:[0,0,1]
	v_mov_b32_e32 v176, v118
	v_mov_b32_e32 v177, v11
	v_pk_add_f32 v[176:177], v[136:137], v[176:177]
	v_mov_b32_e32 v178, v164
	v_mov_b32_e32 v179, v163
	v_pk_add_f32 v[176:177], v[178:179], v[176:177]
	v_pk_mul_f32 v[178:179], v[186:187], s[20:21] op_sel_hi:[1,0]
	v_mov_b32_e32 v11, v119
	v_pk_fma_f32 v[180:181], v[184:185], s[18:19], v[178:179] op_sel:[0,0,1] op_sel_hi:[1,0,0]
	v_pk_fma_f32 v[178:179], v[184:185], s[18:19], v[178:179] op_sel:[0,0,1] op_sel_hi:[1,0,0] neg_lo:[0,0,1] neg_hi:[0,0,1]
	v_mov_b32_e32 v184, v180
	v_mov_b32_e32 v185, v179
	v_pk_add_f32 v[176:177], v[184:185], v[176:177]
	v_pk_mul_f32 v[184:185], v[192:193], s[38:39] op_sel_hi:[1,0]
	v_mov_b32_e32 v163, v165
	v_pk_fma_f32 v[186:187], v[188:189], s[8:9], v[184:185] op_sel:[0,0,1] op_sel_hi:[1,0,0]
	v_pk_fma_f32 v[184:185], v[188:189], s[8:9], v[184:185] op_sel:[0,0,1] op_sel_hi:[1,0,0] neg_lo:[0,0,1] neg_hi:[0,0,1]
	v_mov_b32_e32 v188, v186
	v_mov_b32_e32 v189, v185
	v_pk_add_f32 v[176:177], v[188:189], v[176:177]
	v_pk_mul_f32 v[188:189], v[244:245], s[16:17] op_sel_hi:[1,0]
	v_pk_add_f32 v[10:11], v[136:137], v[10:11]
	v_pk_fma_f32 v[192:193], v[242:243], s[14:15], v[188:189] op_sel:[0,0,1] op_sel_hi:[1,0,0]
	v_pk_fma_f32 v[188:189], v[242:243], s[14:15], v[188:189] op_sel:[0,0,1] op_sel_hi:[1,0,0] neg_lo:[0,0,1] neg_hi:[0,0,1]
	v_mov_b32_e32 v242, v192
	v_mov_b32_e32 v243, v189
	v_pk_add_f32 v[10:11], v[162:163], v[10:11]
	v_mov_b32_e32 v179, v181
	v_pk_add_f32 v[176:177], v[242:243], v[176:177]
	v_pk_mul_f32 v[242:243], v[250:251], s[28:29] op_sel_hi:[1,0]
	v_pk_add_f32 v[10:11], v[178:179], v[10:11]
	v_mov_b32_e32 v185, v187
	v_pk_fma_f32 v[244:245], v[248:249], s[12:13], v[242:243] op_sel:[0,0,1] op_sel_hi:[1,0,0]
	v_pk_fma_f32 v[242:243], v[248:249], s[12:13], v[242:243] op_sel:[0,0,1] op_sel_hi:[1,0,0] neg_lo:[0,0,1] neg_hi:[0,0,1]
	v_pk_add_f32 v[10:11], v[184:185], v[10:11]
	v_mov_b32_e32 v189, v193
	v_mov_b32_e32 v248, v244
	;; [unrolled: 1-line block ×3, first 2 shown]
	v_pk_add_f32 v[10:11], v[188:189], v[10:11]
	v_mov_b32_e32 v243, v245
	v_pk_add_f32 v[176:177], v[248:249], v[176:177]
	v_pk_add_f32 v[10:11], v[242:243], v[10:11]
	v_mov_b32_e32 v253, v121
	ds_write2_b64 v122, v[176:177], v[10:11] offset0:6 offset1:7
	v_mov_b32_e32 v217, v117
	v_pk_add_f32 v[10:11], v[136:137], v[252:253]
	v_mov_b32_e32 v219, v125
	v_pk_add_f32 v[10:11], v[216:217], v[10:11]
	;; [unrolled: 2-line block ×12, first 2 shown]
	ds_write2_b64 v122, v[8:9], v[10:11] offset0:8 offset1:9
	v_mov_b32_e32 v11, v36
	v_mov_b32_e32 v10, v36
	v_accvgpr_write_b32 a105, v11
	v_mov_b32_e32 v9, v44
	v_accvgpr_write_b32 a104, v10
	v_mov_b32_e32 v11, v20
	v_mov_b32_e32 v8, v44
	v_accvgpr_write_b32 a109, v9
	v_mov_b32_e32 v10, v20
	v_accvgpr_write_b32 a97, v11
	v_accvgpr_write_b32 a108, v8
	v_mov_b32_e32 v9, v40
	v_accvgpr_write_b32 a96, v10
	v_mov_b32_e32 v11, v16
	v_mov_b32_e32 v8, v40
	v_accvgpr_write_b32 a99, v9
	v_mov_b32_e32 v10, v16
	v_accvgpr_write_b32 a91, v11
	v_mov_b32_e32 v147, v145
	v_mov_b32_e32 v235, v223
	v_accvgpr_write_b32 a98, v8
	v_pk_add_f32 v[8:9], v[136:137], v[228:229]
	v_accvgpr_write_b32 a90, v10
	v_mov_b32_e32 v203, v149
	v_pk_add_f32 v[10:11], v[136:137], v[146:147]
	v_pk_add_f32 v[8:9], v[234:235], v[8:9]
	v_mov_b32_e32 v225, v233
	v_pk_add_f32 v[10:11], v[202:203], v[10:11]
	v_mov_b32_e32 v151, v153
	;; [unrolled: 2-line block ×8, first 2 shown]
	v_pk_add_f32 v[8:9], v[140:141], v[8:9]
	v_pk_add_f32 v[10:11], v[156:157], v[10:11]
	v_accvgpr_read_b32 v215, a69
	ds_write2_b64 v122, v[8:9], v[10:11] offset0:10 offset1:11
	v_pk_add_f32 v[8:9], v[136:137], v[214:215]
	v_accvgpr_read_b32 v213, a45
	v_mov_b32_e32 v116, v0
	v_mov_b32_e32 v11, v108
	v_pk_add_f32 v[8:9], v[212:213], v[8:9]
	v_accvgpr_read_b32 v191, a67
	v_mov_b32_e32 v117, v0
	v_accvgpr_write_b32 a74, v116
	v_mov_b32_e32 v10, v108
	v_accvgpr_write_b32 a87, v11
	v_pk_add_f32 v[8:9], v[190:191], v[8:9]
	v_accvgpr_read_b32 v161, a71
	v_accvgpr_read_b32 v245, a41
	v_accvgpr_write_b32 a75, v117
	v_mov_b32_e32 v116, v52
	v_accvgpr_write_b32 a86, v10
	v_mov_b32_e32 v11, v104
	v_pk_add_f32 v[8:9], v[160:161], v[8:9]
	v_accvgpr_read_b32 v173, a73
	v_accvgpr_read_b32 v244, a40
	;; [unrolled: 1-line block ×4, first 2 shown]
	v_mov_b32_e32 v117, v52
	v_accvgpr_write_b32 a102, v116
	v_mov_b32_e32 v10, v104
	v_accvgpr_write_b32 a89, v11
	v_pk_add_f32 v[8:9], v[172:173], v[8:9]
	v_accvgpr_read_b32 v183, a77
	v_mov_b32_e32 v188, v12
	v_mov_b32_e32 v189, v12
	;; [unrolled: 1-line block ×3, first 2 shown]
	v_accvgpr_write_b32 a116, v14
	v_accvgpr_write_b32 a117, v14
	v_mov_b32_e32 v14, v15
	v_mov_b32_e32 v162, v242
	;; [unrolled: 1-line block ×4, first 2 shown]
	v_accvgpr_write_b32 a114, v244
	v_accvgpr_write_b32 a115, v244
	v_mov_b32_e32 v244, v245
	v_mov_b32_e32 v184, v80
	;; [unrolled: 1-line block ×56, first 2 shown]
	v_accvgpr_write_b32 a78, v2
	v_accvgpr_write_b32 a79, v2
	v_mov_b32_e32 v2, v3
	v_accvgpr_write_b32 a103, v117
	v_mov_b32_e32 v52, v53
	v_accvgpr_write_b32 a110, v54
	v_accvgpr_write_b32 a111, v54
	v_mov_b32_e32 v54, v55
	v_mov_b32_e32 v44, v45
	v_accvgpr_write_b32 a112, v46
	v_accvgpr_write_b32 a113, v46
	v_mov_b32_e32 v46, v47
	;; [unrolled: 4-line block ×6, first 2 shown]
	v_mov_b32_e32 v196, v68
	v_mov_b32_e32 v197, v68
	;; [unrolled: 1-line block ×52, first 2 shown]
	v_accvgpr_write_b32 a88, v10
	v_mov_b32_e32 v104, v105
	v_mov_b32_e32 v212, v106
	;; [unrolled: 1-line block ×4, first 2 shown]
	v_add_u32_e32 v202, 0x410, v198
	v_add_u32_e32 v195, 0x618, v198
	;; [unrolled: 1-line block ×3, first 2 shown]
	v_pk_add_f32 v[8:9], v[182:183], v[8:9]
	ds_write_b64 v122, v[8:9] offset:96
	s_and_saveexec_b64 s[46:47], s[2:3]
	s_cbranch_execz .LBB0_13
; %bb.12:
	v_accvgpr_read_b32 v121, a49
	v_pk_add_f32 v[8:9], v[114:115], v[112:113]
	v_accvgpr_read_b32 v119, a47
	v_accvgpr_read_b32 v118, a46
	v_accvgpr_read_b32 v120, a48
	v_pk_add_f32 v[8:9], v[118:119], v[8:9]
	v_accvgpr_read_b32 v129, a57
	v_pk_add_f32 v[8:9], v[120:121], v[8:9]
	v_accvgpr_read_b32 v127, a55
	v_accvgpr_read_b32 v126, a54
	v_accvgpr_read_b32 v128, a56
	v_pk_add_f32 v[8:9], v[126:127], v[8:9]
	v_accvgpr_read_b32 v125, a53
	v_pk_add_f32 v[8:9], v[128:129], v[8:9]
	v_accvgpr_read_b32 v123, a51
	v_accvgpr_read_b32 v122, a50
	v_accvgpr_read_b32 v124, a52
	v_pk_add_f32 v[8:9], v[122:123], v[8:9]
	v_accvgpr_read_b32 v139, a61
	v_pk_add_f32 v[8:9], v[124:125], v[8:9]
	v_accvgpr_read_b32 v137, a59
	v_accvgpr_read_b32 v136, a58
	v_accvgpr_read_b32 v117, a43
	v_accvgpr_read_b32 v138, a60
	v_pk_add_f32 v[8:9], v[136:137], v[8:9]
	v_accvgpr_read_b32 v133, a65
	v_accvgpr_read_b32 v116, a42
	v_accvgpr_write_b32 a52, v216
	v_accvgpr_read_b32 v10, a44
	v_pk_add_f32 v[8:9], v[138:139], v[8:9]
	v_accvgpr_read_b32 v131, a63
	v_accvgpr_read_b32 v130, a62
	v_accvgpr_write_b32 a53, v217
	v_pk_add_f32 v[216:217], v[114:115], v[116:117] neg_lo:[0,1] neg_hi:[0,1]
	v_lshl_add_u32 v199, v10, 3, v199
	v_accvgpr_read_b32 v132, a64
	v_pk_add_f32 v[8:9], v[130:131], v[8:9]
	v_pk_add_f32 v[10:11], v[116:117], v[114:115]
	v_accvgpr_write_b32 a54, v218
	v_pk_mul_f32 v[114:115], v[216:217], s[42:43] op_sel_hi:[1,0]
	v_pk_add_f32 v[8:9], v[132:133], v[8:9]
	v_accvgpr_write_b32 a55, v219
	v_pk_add_f32 v[218:219], v[132:133], v[118:119]
	v_pk_add_f32 v[172:173], v[118:119], v[132:133] neg_lo:[0,1] neg_hi:[0,1]
	v_pk_fma_f32 v[118:119], v[10:11], s[0:1], v[114:115] op_sel:[0,0,1] op_sel_hi:[1,0,0]
	v_pk_add_f32 v[8:9], v[116:117], v[8:9]
	v_pk_fma_f32 v[116:117], v[10:11], s[0:1], v[114:115] op_sel:[0,0,1] op_sel_hi:[1,0,0] neg_lo:[0,0,1] neg_hi:[0,0,1]
	v_mov_b32_e32 v114, v118
	v_accvgpr_write_b32 a119, v119
	v_pk_mul_f32 v[118:119], v[172:173], s[22:23] op_sel_hi:[1,0]
	v_pk_add_f32 v[148:149], v[130:131], v[120:121]
	v_pk_add_f32 v[134:135], v[120:121], v[130:131] neg_lo:[0,1] neg_hi:[0,1]
	v_pk_add_f32 v[140:141], v[124:125], v[122:123]
	v_pk_add_f32 v[158:159], v[122:123], v[124:125] neg_lo:[0,1] neg_hi:[0,1]
	v_mov_b32_e32 v115, v117
	v_pk_fma_f32 v[122:123], v[218:219], s[8:9], v[118:119] op_sel:[0,0,1] op_sel_hi:[1,0,0]
	v_pk_fma_f32 v[120:121], v[218:219], s[8:9], v[118:119] op_sel:[0,0,1] op_sel_hi:[1,0,0] neg_lo:[0,0,1] neg_hi:[0,0,1]
	v_pk_add_f32 v[114:115], v[112:113], v[114:115]
	v_mov_b32_e32 v118, v122
	v_mov_b32_e32 v119, v121
	v_pk_add_f32 v[114:115], v[118:119], v[114:115]
	v_pk_mul_f32 v[118:119], v[134:135], s[30:31] op_sel_hi:[1,0]
	v_accvgpr_write_b32 a121, v123
	v_pk_fma_f32 v[122:123], v[148:149], s[12:13], v[118:119] op_sel:[0,0,1] op_sel_hi:[1,0,0]
	v_pk_fma_f32 v[124:125], v[148:149], s[12:13], v[118:119] op_sel:[0,0,1] op_sel_hi:[1,0,0] neg_lo:[0,0,1] neg_hi:[0,0,1]
	v_pk_add_f32 v[152:153], v[126:127], v[138:139] neg_lo:[0,1] neg_hi:[0,1]
	v_mov_b32_e32 v118, v122
	v_mov_b32_e32 v119, v125
	v_pk_add_f32 v[130:131], v[138:139], v[126:127]
	v_pk_add_f32 v[114:115], v[118:119], v[114:115]
	v_pk_mul_f32 v[118:119], v[152:153], s[16:17] op_sel_hi:[1,0]
	v_pk_add_f32 v[146:147], v[136:137], v[128:129]
	v_pk_add_f32 v[150:151], v[128:129], v[136:137] neg_lo:[0,1] neg_hi:[0,1]
	v_accvgpr_write_b32 a123, v123
	v_pk_fma_f32 v[122:123], v[130:131], s[14:15], v[118:119] op_sel:[0,0,1] op_sel_hi:[1,0,0]
	v_pk_fma_f32 v[128:129], v[130:131], s[14:15], v[118:119] op_sel:[0,0,1] op_sel_hi:[1,0,0] neg_lo:[0,0,1] neg_hi:[0,0,1]
	v_mov_b32_e32 v118, v122
	v_mov_b32_e32 v119, v129
	v_pk_add_f32 v[114:115], v[118:119], v[114:115]
	v_pk_mul_f32 v[118:119], v[150:151], s[20:21] op_sel_hi:[1,0]
	v_accvgpr_write_b32 a125, v123
	v_pk_fma_f32 v[122:123], v[146:147], s[18:19], v[118:119] op_sel:[0,0,1] op_sel_hi:[1,0,0]
	v_pk_fma_f32 v[132:133], v[146:147], s[18:19], v[118:119] op_sel:[0,0,1] op_sel_hi:[1,0,0] neg_lo:[0,0,1] neg_hi:[0,0,1]
	v_mov_b32_e32 v118, v122
	v_mov_b32_e32 v119, v133
	v_pk_add_f32 v[114:115], v[118:119], v[114:115]
	v_pk_mul_f32 v[118:119], v[158:159], s[26:27] op_sel_hi:[1,0]
	v_accvgpr_write_b32 a127, v123
	v_pk_fma_f32 v[122:123], v[140:141], s[24:25], v[118:119] op_sel:[0,0,1] op_sel_hi:[1,0,0]
	v_pk_fma_f32 v[160:161], v[140:141], s[24:25], v[118:119] op_sel:[0,0,1] op_sel_hi:[1,0,0] neg_lo:[0,0,1] neg_hi:[0,0,1]
	v_mov_b32_e32 v118, v122
	v_mov_b32_e32 v119, v161
	v_pk_add_f32 v[114:115], v[118:119], v[114:115]
	ds_write2_b64 v199, v[8:9], v[114:115] offset1:1
	v_pk_mul_f32 v[8:9], v[216:217], s[22:23] op_sel_hi:[1,0]
	v_accvgpr_write_b32 a129, v123
	v_pk_fma_f32 v[114:115], v[10:11], s[8:9], v[8:9] op_sel:[0,0,1] op_sel_hi:[1,0,0]
	v_pk_fma_f32 v[182:183], v[10:11], s[8:9], v[8:9] op_sel:[0,0,1] op_sel_hi:[1,0,0] neg_lo:[0,0,1] neg_hi:[0,0,1]
	v_mov_b32_e32 v8, v114
	v_mov_b32_e32 v121, v115
	v_pk_mul_f32 v[114:115], v[172:173], s[16:17] op_sel_hi:[1,0]
	v_mov_b32_e32 v9, v183
	v_pk_fma_f32 v[118:119], v[218:219], s[14:15], v[114:115] op_sel:[0,0,1] op_sel_hi:[1,0,0]
	v_pk_fma_f32 v[190:191], v[218:219], s[14:15], v[114:115] op_sel:[0,0,1] op_sel_hi:[1,0,0] neg_lo:[0,0,1] neg_hi:[0,0,1]
	v_pk_add_f32 v[8:9], v[112:113], v[8:9]
	v_mov_b32_e32 v114, v118
	v_mov_b32_e32 v115, v191
	v_pk_add_f32 v[8:9], v[114:115], v[8:9]
	v_pk_mul_f32 v[114:115], v[134:135], s[26:27] op_sel_hi:[1,0]
	v_mov_b32_e32 v125, v119
	v_pk_fma_f32 v[118:119], v[148:149], s[24:25], v[114:115] op_sel:[0,0,1] op_sel_hi:[1,0,0]
	v_pk_fma_f32 v[114:115], v[148:149], s[24:25], v[114:115] op_sel:[0,0,1] op_sel_hi:[1,0,0] neg_lo:[0,0,1] neg_hi:[0,0,1]
	v_mov_b32_e32 v129, v119
	v_mov_b32_e32 v119, v115
	v_pk_add_f32 v[8:9], v[118:119], v[8:9]
	v_pk_mul_f32 v[118:119], v[152:153], s[36:37] op_sel_hi:[1,0]
	v_accvgpr_write_b32 a48, v206
	v_pk_fma_f32 v[122:123], v[130:131], s[18:19], v[118:119] op_sel:[0,0,1] op_sel_hi:[1,0,0]
	v_pk_fma_f32 v[118:119], v[130:131], s[18:19], v[118:119] op_sel:[0,0,1] op_sel_hi:[1,0,0] neg_lo:[0,0,1] neg_hi:[0,0,1]
	v_mov_b32_e32 v133, v123
	v_mov_b32_e32 v123, v119
	v_pk_add_f32 v[8:9], v[122:123], v[8:9]
	v_pk_mul_f32 v[122:123], v[150:151], s[28:29] op_sel_hi:[1,0]
	v_accvgpr_write_b32 a49, v207
	v_pk_fma_f32 v[126:127], v[146:147], s[12:13], v[122:123] op_sel:[0,0,1] op_sel_hi:[1,0,0]
	v_pk_fma_f32 v[122:123], v[146:147], s[12:13], v[122:123] op_sel:[0,0,1] op_sel_hi:[1,0,0] neg_lo:[0,0,1] neg_hi:[0,0,1]
	v_mov_b32_e32 v161, v127
	v_mov_b32_e32 v127, v123
	v_pk_add_f32 v[144:145], v[126:127], v[8:9]
	v_pk_mul_f32 v[126:127], v[158:159], s[34:35] op_sel_hi:[1,0]
	v_pk_mul_f32 v[154:155], v[172:173], s[26:27] op_sel_hi:[1,0]
	v_pk_fma_f32 v[8:9], v[140:141], s[0:1], v[126:127] op_sel:[0,0,1] op_sel_hi:[1,0,0]
	v_pk_fma_f32 v[126:127], v[140:141], s[0:1], v[126:127] op_sel:[0,0,1] op_sel_hi:[1,0,0] neg_lo:[0,0,1] neg_hi:[0,0,1]
	v_accvgpr_write_b32 a131, v9
	v_mov_b32_e32 v9, v127
	v_pk_add_f32 v[8:9], v[8:9], v[144:145]
	v_pk_mul_f32 v[144:145], v[216:217], s[30:31] op_sel_hi:[1,0]
	v_accvgpr_write_b32 a60, v210
	v_pk_fma_f32 v[136:137], v[10:11], s[12:13], v[144:145] op_sel:[0,0,1] op_sel_hi:[1,0,0]
	v_pk_fma_f32 v[206:207], v[10:11], s[12:13], v[144:145] op_sel:[0,0,1] op_sel_hi:[1,0,0] neg_lo:[0,0,1] neg_hi:[0,0,1]
	v_mov_b32_e32 v144, v136
	v_mov_b32_e32 v123, v137
	;; [unrolled: 1-line block ×3, first 2 shown]
	v_pk_fma_f32 v[136:137], v[218:219], s[24:25], v[154:155] op_sel:[0,0,1] op_sel_hi:[1,0,0]
	v_accvgpr_write_b32 a61, v211
	v_pk_fma_f32 v[210:211], v[218:219], s[24:25], v[154:155] op_sel:[0,0,1] op_sel_hi:[1,0,0] neg_lo:[0,0,1] neg_hi:[0,0,1]
	v_pk_add_f32 v[144:145], v[112:113], v[144:145]
	v_mov_b32_e32 v154, v136
	v_mov_b32_e32 v155, v211
	v_pk_add_f32 v[144:145], v[154:155], v[144:145]
	v_pk_mul_f32 v[154:155], v[134:135], s[44:45] op_sel_hi:[1,0]
	v_mov_b32_e32 v127, v137
	v_pk_fma_f32 v[136:137], v[148:149], s[14:15], v[154:155] op_sel:[0,0,1] op_sel_hi:[1,0,0]
	v_pk_fma_f32 v[156:157], v[148:149], s[14:15], v[154:155] op_sel:[0,0,1] op_sel_hi:[1,0,0] neg_lo:[0,0,1] neg_hi:[0,0,1]
	v_mov_b32_e32 v154, v136
	v_mov_b32_e32 v155, v157
	v_pk_add_f32 v[144:145], v[154:155], v[144:145]
	v_pk_mul_f32 v[154:155], v[152:153], s[34:35] op_sel_hi:[1,0]
	v_mov_b32_e32 v183, v137
	v_pk_fma_f32 v[136:137], v[130:131], s[0:1], v[154:155] op_sel:[0,0,1] op_sel_hi:[1,0,0]
	v_mov_b32_e32 v115, v194
	v_mov_b32_e32 v117, v195
	v_pk_fma_f32 v[194:195], v[130:131], s[0:1], v[154:155] op_sel:[0,0,1] op_sel_hi:[1,0,0] neg_lo:[0,0,1] neg_hi:[0,0,1]
	v_mov_b32_e32 v154, v136
	v_mov_b32_e32 v155, v195
	v_pk_add_f32 v[144:145], v[154:155], v[144:145]
	v_pk_mul_f32 v[154:155], v[150:151], s[22:23] op_sel_hi:[1,0]
	v_mov_b32_e32 v191, v137
	v_pk_fma_f32 v[136:137], v[146:147], s[8:9], v[154:155] op_sel:[0,0,1] op_sel_hi:[1,0,0]
	v_mov_b32_e32 v119, v202
	v_pk_fma_f32 v[202:203], v[146:147], s[8:9], v[154:155] op_sel:[0,0,1] op_sel_hi:[1,0,0] neg_lo:[0,0,1] neg_hi:[0,0,1]
	v_mov_b32_e32 v154, v136
	v_mov_b32_e32 v155, v203
	v_pk_add_f32 v[144:145], v[154:155], v[144:145]
	v_pk_mul_f32 v[154:155], v[158:159], s[20:21] op_sel_hi:[1,0]
	v_accvgpr_write_b32 a133, v137
	v_pk_fma_f32 v[138:139], v[140:141], s[18:19], v[154:155] op_sel:[0,0,1] op_sel_hi:[1,0,0]
	v_pk_fma_f32 v[136:137], v[140:141], s[18:19], v[154:155] op_sel:[0,0,1] op_sel_hi:[1,0,0] neg_lo:[0,0,1] neg_hi:[0,0,1]
	v_mov_b32_e32 v154, v138
	v_mov_b32_e32 v155, v137
	v_pk_add_f32 v[144:145], v[154:155], v[144:145]
	ds_write2_b64 v199, v[8:9], v[144:145] offset0:2 offset1:3
	v_pk_mul_f32 v[8:9], v[216:217], s[16:17] op_sel_hi:[1,0]
	v_accvgpr_write_b32 a84, v212
	v_pk_fma_f32 v[154:155], v[10:11], s[14:15], v[8:9] op_sel:[0,0,1] op_sel_hi:[1,0,0]
	v_pk_fma_f32 v[8:9], v[10:11], s[14:15], v[8:9] op_sel:[0,0,1] op_sel_hi:[1,0,0] neg_lo:[0,0,1] neg_hi:[0,0,1]
	v_accvgpr_write_b32 a85, v213
	v_pk_mul_f32 v[212:213], v[172:173], s[36:37] op_sel_hi:[1,0]
	v_accvgpr_write_b32 a135, v139
	v_mov_b32_e32 v137, v155
	v_mov_b32_e32 v155, v9
	v_pk_fma_f32 v[138:139], v[218:219], s[18:19], v[212:213] op_sel:[0,0,1] op_sel_hi:[1,0,0]
	v_pk_fma_f32 v[212:213], v[218:219], s[18:19], v[212:213] op_sel:[0,0,1] op_sel_hi:[1,0,0] neg_lo:[0,0,1] neg_hi:[0,0,1]
	v_accvgpr_write_b32 a82, v214
	v_pk_add_f32 v[154:155], v[112:113], v[154:155]
	v_accvgpr_write_b32 a83, v215
	v_mov_b32_e32 v214, v138
	v_mov_b32_e32 v215, v213
	v_pk_add_f32 v[154:155], v[214:215], v[154:155]
	v_pk_mul_f32 v[214:215], v[134:135], s[34:35] op_sel_hi:[1,0]
	v_mov_b32_e32 v157, v139
	v_pk_fma_f32 v[138:139], v[148:149], s[0:1], v[214:215] op_sel:[0,0,1] op_sel_hi:[1,0,0]
	v_pk_fma_f32 v[214:215], v[148:149], s[0:1], v[214:215] op_sel:[0,0,1] op_sel_hi:[1,0,0] neg_lo:[0,0,1] neg_hi:[0,0,1]
	v_accvgpr_write_b32 a56, v220
	v_accvgpr_write_b32 a57, v221
	v_mov_b32_e32 v220, v138
	v_mov_b32_e32 v221, v215
	v_pk_add_f32 v[154:155], v[220:221], v[154:155]
	v_pk_mul_f32 v[220:221], v[152:153], s[30:31] op_sel_hi:[1,0]
	v_accvgpr_write_b32 a64, v228
	v_accvgpr_write_b32 a65, v229
	v_pk_fma_f32 v[228:229], v[130:131], s[12:13], v[220:221] op_sel:[0,0,1] op_sel_hi:[1,0,0]
	v_pk_fma_f32 v[220:221], v[130:131], s[12:13], v[220:221] op_sel:[0,0,1] op_sel_hi:[1,0,0] neg_lo:[0,0,1] neg_hi:[0,0,1]
	v_mov_b32_e32 v142, v228
	v_mov_b32_e32 v143, v221
	v_pk_add_f32 v[142:143], v[142:143], v[154:155]
	v_pk_mul_f32 v[154:155], v[150:151], s[40:41] op_sel_hi:[1,0]
	v_accvgpr_write_b32 a76, v234
	v_accvgpr_write_b32 a77, v235
	v_pk_fma_f32 v[234:235], v[146:147], s[24:25], v[154:155] op_sel:[0,0,1] op_sel_hi:[1,0,0]
	v_pk_fma_f32 v[154:155], v[146:147], s[24:25], v[154:155] op_sel:[0,0,1] op_sel_hi:[1,0,0] neg_lo:[0,0,1] neg_hi:[0,0,1]
	v_accvgpr_write_b32 a62, v224
	v_accvgpr_write_b32 a63, v225
	v_mov_b32_e32 v224, v234
	v_mov_b32_e32 v225, v155
	v_pk_add_f32 v[142:143], v[224:225], v[142:143]
	v_pk_mul_f32 v[224:225], v[158:159], s[38:39] op_sel_hi:[1,0]
	v_accvgpr_write_b32 a70, v238
	v_pk_fma_f32 v[144:145], v[140:141], s[8:9], v[224:225] op_sel:[0,0,1] op_sel_hi:[1,0,0]
	v_pk_fma_f32 v[224:225], v[140:141], s[8:9], v[224:225] op_sel:[0,0,1] op_sel_hi:[1,0,0] neg_lo:[0,0,1] neg_hi:[0,0,1]
	v_accvgpr_write_b32 a71, v239
	v_mov_b32_e32 v238, v144
	v_mov_b32_e32 v239, v225
	v_pk_add_f32 v[142:143], v[238:239], v[142:143]
	v_pk_mul_f32 v[238:239], v[216:217], s[20:21] op_sel_hi:[1,0]
	v_accvgpr_write_b32 a68, v230
	v_accvgpr_write_b32 a72, v232
	;; [unrolled: 1-line block ×3, first 2 shown]
	v_pk_fma_f32 v[230:231], v[10:11], s[18:19], v[238:239] op_sel:[0,0,1] op_sel_hi:[1,0,0]
	v_pk_fma_f32 v[238:239], v[10:11], s[18:19], v[238:239] op_sel:[0,0,1] op_sel_hi:[1,0,0] neg_lo:[0,0,1] neg_hi:[0,0,1]
	v_accvgpr_write_b32 a80, v240
	v_accvgpr_write_b32 a73, v233
	v_pk_mul_f32 v[232:233], v[172:173], s[28:29] op_sel_hi:[1,0]
	v_accvgpr_write_b32 a38, v242
	v_accvgpr_write_b32 a81, v241
	v_mov_b32_e32 v240, v230
	v_mov_b32_e32 v241, v239
	v_accvgpr_write_b32 a39, v243
	v_accvgpr_write_b32 a40, v244
	;; [unrolled: 1-line block ×3, first 2 shown]
	v_pk_fma_f32 v[242:243], v[218:219], s[12:13], v[232:233] op_sel:[0,0,1] op_sel_hi:[1,0,0]
	v_pk_fma_f32 v[232:233], v[218:219], s[12:13], v[232:233] op_sel:[0,0,1] op_sel_hi:[1,0,0] neg_lo:[0,0,1] neg_hi:[0,0,1]
	v_accvgpr_write_b32 a66, v236
	v_pk_add_f32 v[240:241], v[112:113], v[240:241]
	v_accvgpr_write_b32 a67, v237
	v_mov_b32_e32 v236, v242
	v_mov_b32_e32 v237, v233
	v_pk_add_f32 v[236:237], v[236:237], v[240:241]
	v_pk_mul_f32 v[240:241], v[134:135], s[22:23] op_sel_hi:[1,0]
	v_accvgpr_write_b32 a58, v222
	v_accvgpr_write_b32 a59, v223
	v_pk_fma_f32 v[222:223], v[148:149], s[8:9], v[240:241] op_sel:[0,0,1] op_sel_hi:[1,0,0]
	v_pk_fma_f32 v[240:241], v[148:149], s[8:9], v[240:241] op_sel:[0,0,1] op_sel_hi:[1,0,0] neg_lo:[0,0,1] neg_hi:[0,0,1]
	v_mov_b32_e32 v195, v139
	v_mov_b32_e32 v138, v222
	;; [unrolled: 1-line block ×3, first 2 shown]
	v_pk_add_f32 v[138:139], v[138:139], v[236:237]
	v_pk_mul_f32 v[236:237], v[152:153], s[40:41] op_sel_hi:[1,0]
	v_mov_b32_e32 v9, v227
	v_pk_fma_f32 v[244:245], v[130:131], s[24:25], v[236:237] op_sel:[0,0,1] op_sel_hi:[1,0,0]
	v_pk_fma_f32 v[236:237], v[130:131], s[24:25], v[236:237] op_sel:[0,0,1] op_sel_hi:[1,0,0] neg_lo:[0,0,1] neg_hi:[0,0,1]
	v_mov_b32_e32 v226, v244
	v_mov_b32_e32 v227, v237
	v_pk_add_f32 v[138:139], v[226:227], v[138:139]
	v_pk_mul_f32 v[226:227], v[150:151], s[34:35] op_sel_hi:[1,0]
	v_accvgpr_write_b32 a50, v208
	v_accvgpr_write_b32 a51, v209
	v_pk_fma_f32 v[208:209], v[146:147], s[0:1], v[226:227] op_sel:[0,0,1] op_sel_hi:[1,0,0]
	v_pk_fma_f32 v[226:227], v[146:147], s[0:1], v[226:227] op_sel:[0,0,1] op_sel_hi:[1,0,0] neg_lo:[0,0,1] neg_hi:[0,0,1]
	v_accvgpr_write_b32 a44, v200
	v_accvgpr_write_b32 a45, v201
	v_mov_b32_e32 v200, v208
	v_mov_b32_e32 v201, v227
	v_pk_add_f32 v[138:139], v[200:201], v[138:139]
	v_pk_mul_f32 v[200:201], v[158:159], s[16:17] op_sel_hi:[1,0]
	v_accvgpr_write_b32 a46, v204
	v_accvgpr_write_b32 a47, v205
	v_pk_fma_f32 v[204:205], v[140:141], s[14:15], v[200:201] op_sel:[0,0,1] op_sel_hi:[1,0,0]
	v_pk_fma_f32 v[200:201], v[140:141], s[14:15], v[200:201] op_sel:[0,0,1] op_sel_hi:[1,0,0] neg_lo:[0,0,1] neg_hi:[0,0,1]
	v_accvgpr_write_b32 a42, v196
	v_accvgpr_write_b32 a43, v197
	v_mov_b32_e32 v196, v204
	v_mov_b32_e32 v197, v201
	v_pk_add_f32 v[138:139], v[196:197], v[138:139]
	ds_write2_b64 v199, v[142:143], v[138:139] offset0:4 offset1:5
	v_pk_mul_f32 v[138:139], v[216:217], s[26:27] op_sel_hi:[1,0]
	v_pk_mul_f32 v[172:173], v[172:173], s[34:35] op_sel_hi:[1,0]
	v_pk_fma_f32 v[142:143], v[10:11], s[24:25], v[138:139] op_sel:[0,0,1] op_sel_hi:[1,0,0]
	v_pk_fma_f32 v[10:11], v[10:11], s[24:25], v[138:139] op_sel:[0,0,1] op_sel_hi:[1,0,0] neg_lo:[0,0,1] neg_hi:[0,0,1]
	v_mov_b32_e32 v138, v142
	v_mov_b32_e32 v139, v11
	v_pk_fma_f32 v[196:197], v[218:219], s[0:1], v[172:173] op_sel:[0,0,1] op_sel_hi:[1,0,0]
	v_pk_fma_f32 v[172:173], v[218:219], s[0:1], v[172:173] op_sel:[0,0,1] op_sel_hi:[1,0,0] neg_lo:[0,0,1] neg_hi:[0,0,1]
	v_pk_add_f32 v[138:139], v[112:113], v[138:139]
	v_mov_b32_e32 v216, v196
	v_mov_b32_e32 v217, v173
	v_pk_mul_f32 v[134:135], v[134:135], s[20:21] op_sel_hi:[1,0]
	v_pk_add_f32 v[138:139], v[216:217], v[138:139]
	v_pk_fma_f32 v[216:217], v[148:149], s[18:19], v[134:135] op_sel:[0,0,1] op_sel_hi:[1,0,0]
	v_pk_fma_f32 v[134:135], v[148:149], s[18:19], v[134:135] op_sel:[0,0,1] op_sel_hi:[1,0,0] neg_lo:[0,0,1] neg_hi:[0,0,1]
	v_mov_b32_e32 v148, v216
	v_mov_b32_e32 v149, v135
	v_pk_add_f32 v[138:139], v[148:149], v[138:139]
	v_pk_mul_f32 v[148:149], v[152:153], s[38:39] op_sel_hi:[1,0]
	v_mov_b32_e32 v11, v143
	v_pk_fma_f32 v[152:153], v[130:131], s[8:9], v[148:149] op_sel:[0,0,1] op_sel_hi:[1,0,0]
	v_pk_fma_f32 v[130:131], v[130:131], s[8:9], v[148:149] op_sel:[0,0,1] op_sel_hi:[1,0,0] neg_lo:[0,0,1] neg_hi:[0,0,1]
	v_mov_b32_e32 v148, v152
	v_mov_b32_e32 v149, v131
	v_pk_add_f32 v[138:139], v[148:149], v[138:139]
	v_pk_mul_f32 v[148:149], v[150:151], s[16:17] op_sel_hi:[1,0]
	v_pk_add_f32 v[10:11], v[112:113], v[10:11]
	v_pk_fma_f32 v[150:151], v[146:147], s[14:15], v[148:149] op_sel:[0,0,1] op_sel_hi:[1,0,0]
	v_pk_fma_f32 v[146:147], v[146:147], s[14:15], v[148:149] op_sel:[0,0,1] op_sel_hi:[1,0,0] neg_lo:[0,0,1] neg_hi:[0,0,1]
	v_mov_b32_e32 v173, v197
	v_mov_b32_e32 v148, v150
	;; [unrolled: 1-line block ×3, first 2 shown]
	v_pk_add_f32 v[10:11], v[172:173], v[10:11]
	v_mov_b32_e32 v135, v217
	v_pk_add_f32 v[138:139], v[148:149], v[138:139]
	v_pk_mul_f32 v[148:149], v[158:159], s[28:29] op_sel_hi:[1,0]
	v_pk_add_f32 v[10:11], v[134:135], v[10:11]
	v_mov_b32_e32 v131, v153
	v_pk_fma_f32 v[158:159], v[140:141], s[12:13], v[148:149] op_sel:[0,0,1] op_sel_hi:[1,0,0]
	v_pk_fma_f32 v[140:141], v[140:141], s[12:13], v[148:149] op_sel:[0,0,1] op_sel_hi:[1,0,0] neg_lo:[0,0,1] neg_hi:[0,0,1]
	v_pk_add_f32 v[10:11], v[130:131], v[10:11]
	v_mov_b32_e32 v147, v151
	v_mov_b32_e32 v148, v158
	;; [unrolled: 1-line block ×3, first 2 shown]
	v_pk_add_f32 v[10:11], v[146:147], v[10:11]
	v_mov_b32_e32 v141, v159
	v_pk_add_f32 v[138:139], v[148:149], v[138:139]
	v_pk_add_f32 v[10:11], v[140:141], v[10:11]
	v_mov_b32_e32 v239, v231
	ds_write2_b64 v199, v[138:139], v[10:11] offset0:6 offset1:7
	v_pk_add_f32 v[10:11], v[112:113], v[238:239]
	v_mov_b32_e32 v233, v243
	v_pk_add_f32 v[10:11], v[232:233], v[10:11]
	v_mov_b32_e32 v241, v223
	;; [unrolled: 2-line block ×5, first 2 shown]
	v_mov_b32_e32 v9, v137
	v_pk_add_f32 v[8:9], v[112:113], v[8:9]
	v_mov_b32_e32 v213, v157
	v_pk_add_f32 v[8:9], v[212:213], v[8:9]
	;; [unrolled: 2-line block ×4, first 2 shown]
	v_mov_b32_e32 v155, v235
	v_mov_b32_e32 v201, v205
	v_pk_add_f32 v[8:9], v[154:155], v[8:9]
	v_mov_b32_e32 v225, v145
	v_pk_add_f32 v[10:11], v[200:201], v[10:11]
	v_pk_add_f32 v[8:9], v[224:225], v[8:9]
	v_mov_b32_e32 v207, v123
	ds_write2_b64 v199, v[10:11], v[8:9] offset0:8 offset1:9
	v_pk_add_f32 v[8:9], v[112:113], v[206:207]
	v_mov_b32_e32 v211, v127
	v_pk_add_f32 v[8:9], v[210:211], v[8:9]
	v_mov_b32_e32 v157, v183
	v_mov_b32_e32 v183, v121
	v_pk_add_f32 v[8:9], v[156:157], v[8:9]
	v_mov_b32_e32 v195, v191
	v_pk_add_f32 v[10:11], v[112:113], v[182:183]
	;; [unrolled: 2-line block ×3, first 2 shown]
	v_mov_b32_e32 v194, v115
	v_accvgpr_read_b32 v203, a133
	v_pk_add_f32 v[10:11], v[190:191], v[10:11]
	v_mov_b32_e32 v115, v129
	v_pk_add_f32 v[8:9], v[202:203], v[8:9]
	v_mov_b32_e32 v202, v119
	;; [unrolled: 2-line block ×4, first 2 shown]
	v_accvgpr_read_b32 v137, a135
	v_pk_add_f32 v[10:11], v[122:123], v[10:11]
	v_accvgpr_read_b32 v127, a131
	v_mov_b32_e32 v195, v117
	v_pk_add_f32 v[8:9], v[136:137], v[8:9]
	v_pk_add_f32 v[10:11], v[126:127], v[10:11]
	v_accvgpr_read_b32 v117, a119
	ds_write2_b64 v199, v[8:9], v[10:11] offset0:10 offset1:11
	v_pk_add_f32 v[8:9], v[112:113], v[116:117]
	v_accvgpr_read_b32 v121, a121
	v_pk_add_f32 v[8:9], v[120:121], v[8:9]
	v_accvgpr_read_b32 v125, a123
	;; [unrolled: 2-line block ×4, first 2 shown]
	v_accvgpr_read_b32 v219, a55
	v_accvgpr_read_b32 v197, a43
	;; [unrolled: 1-line block ×21, first 2 shown]
	v_pk_add_f32 v[8:9], v[132:133], v[8:9]
	v_accvgpr_read_b32 v161, a129
	v_accvgpr_read_b32 v218, a54
	;; [unrolled: 1-line block ×25, first 2 shown]
	v_pk_add_f32 v[8:9], v[160:161], v[8:9]
	ds_write_b64 v199, v[8:9] offset:96
.LBB0_13:
	s_or_b64 exec, exec, s[46:47]
	v_add_u32_e32 v118, 0x1000, v198
	s_waitcnt lgkmcnt(0)
	s_barrier
	ds_read2_b64 v[120:123], v118 offset0:8 offset1:73
	v_add_u32_e32 v119, 0x1800, v198
	v_accvgpr_read_b32 v10, a116
	v_accvgpr_read_b32 v11, a117
	s_mov_b32 s8, 0x3f737871
	s_waitcnt lgkmcnt(0)
	v_pk_mul_f32 v[8:9], v[12:13], v[122:123]
	s_mov_b32 s12, 0x3f167918
	v_pk_fma_f32 v[112:113], v[188:189], v[122:123], v[8:9] op_sel:[0,0,1] op_sel_hi:[1,1,0]
	v_pk_fma_f32 v[12:13], v[188:189], v[122:123], v[8:9] op_sel:[0,0,1] op_sel_hi:[1,1,0] neg_lo:[0,0,1] neg_hi:[0,0,1]
	v_pk_mul_f32 v[8:9], v[80:81], v[120:121]
	s_mov_b32 s0, 0x3e9e377a
	v_pk_fma_f32 v[116:117], v[184:185], v[120:121], v[8:9] op_sel:[0,0,1] op_sel_hi:[1,1,0] neg_lo:[0,0,1] neg_hi:[0,0,1]
	v_pk_fma_f32 v[114:115], v[184:185], v[120:121], v[8:9] op_sel:[0,0,1] op_sel_hi:[1,1,0]
	v_add_u32_e32 v116, 0x2000, v198
	ds_read2_b64 v[120:123], v116 offset0:146 offset1:211
	v_accvgpr_read_b32 v12, a37
	v_mov_b32_e32 v113, v13
	v_mov_b32_e32 v115, v117
	s_waitcnt lgkmcnt(0)
	v_pk_mul_f32 v[8:9], v[242:243], v[122:123]
	s_nop 0
	v_pk_fma_f32 v[80:81], v[162:163], v[122:123], v[8:9] op_sel:[0,0,1] op_sel_hi:[1,1,0]
	v_pk_fma_f32 v[126:127], v[162:163], v[122:123], v[8:9] op_sel:[0,0,1] op_sel_hi:[1,1,0] neg_lo:[0,0,1] neg_hi:[0,0,1]
	v_pk_mul_f32 v[8:9], v[56:57], v[120:121]
	v_mov_b32_e32 v81, v127
	v_pk_fma_f32 v[56:57], v[186:187], v[120:121], v[8:9] op_sel:[0,0,1] op_sel_hi:[1,1,0]
	v_pk_fma_f32 v[128:129], v[186:187], v[120:121], v[8:9] op_sel:[0,0,1] op_sel_hi:[1,1,0] neg_lo:[0,0,1] neg_hi:[0,0,1]
	ds_read2_b64 v[120:123], v119 offset0:12 offset1:77
	v_mov_b32_e32 v57, v129
	s_waitcnt lgkmcnt(0)
	v_pk_mul_f32 v[8:9], v[82:83], v[122:123]
	s_nop 0
	v_pk_fma_f32 v[82:83], v[180:181], v[122:123], v[8:9] op_sel:[0,0,1] op_sel_hi:[1,1,0]
	v_pk_fma_f32 v[130:131], v[180:181], v[122:123], v[8:9] op_sel:[0,0,1] op_sel_hi:[1,1,0] neg_lo:[0,0,1] neg_hi:[0,0,1]
	v_pk_mul_f32 v[8:9], v[74:75], v[120:121]
	v_mov_b32_e32 v83, v131
	v_pk_fma_f32 v[74:75], v[178:179], v[120:121], v[8:9] op_sel:[0,0,1] op_sel_hi:[1,1,0]
	v_pk_fma_f32 v[132:133], v[178:179], v[120:121], v[8:9] op_sel:[0,0,1] op_sel_hi:[1,1,0] neg_lo:[0,0,1] neg_hi:[0,0,1]
	v_add_u32_e32 v120, 0x2800, v198
	ds_read2_b64 v[122:125], v120 offset0:150 offset1:215
	v_add_u32_e32 v121, 0x800, v198
	v_accvgpr_read_b32 v132, a33
	v_mov_b32_e32 v75, v133
	s_waitcnt lgkmcnt(0)
	v_pk_mul_f32 v[8:9], v[58:59], v[124:125]
	s_nop 0
	v_pk_fma_f32 v[58:59], v[192:193], v[124:125], v[8:9] op_sel:[0,0,1] op_sel_hi:[1,1,0]
	v_pk_fma_f32 v[134:135], v[192:193], v[124:125], v[8:9] op_sel:[0,0,1] op_sel_hi:[1,1,0] neg_lo:[0,0,1] neg_hi:[0,0,1]
	v_pk_mul_f32 v[8:9], v[62:63], v[122:123]
	v_mov_b32_e32 v59, v135
	v_pk_fma_f32 v[62:63], v[176:177], v[122:123], v[8:9] op_sel:[0,0,1] op_sel_hi:[1,1,0]
	v_pk_fma_f32 v[136:137], v[176:177], v[122:123], v[8:9] op_sel:[0,0,1] op_sel_hi:[1,1,0] neg_lo:[0,0,1] neg_hi:[0,0,1]
	ds_read2_b64 v[122:125], v121 offset0:134 offset1:199
	v_mov_b32_e32 v63, v137
	s_waitcnt lgkmcnt(0)
	v_pk_mul_f32 v[8:9], v[72:73], v[124:125]
	s_nop 0
	v_pk_fma_f32 v[72:73], v[252:253], v[124:125], v[8:9] op_sel:[0,0,1] op_sel_hi:[1,1,0]
	v_pk_fma_f32 v[138:139], v[252:253], v[124:125], v[8:9] op_sel:[0,0,1] op_sel_hi:[1,1,0] neg_lo:[0,0,1] neg_hi:[0,0,1]
	v_pk_mul_f32 v[8:9], v[48:49], v[122:123]
	v_mov_b32_e32 v73, v139
	v_pk_fma_f32 v[140:141], v[164:165], v[122:123], v[8:9] op_sel:[0,0,1] op_sel_hi:[1,1,0]
	v_pk_fma_f32 v[142:143], v[164:165], v[122:123], v[8:9] op_sel:[0,0,1] op_sel_hi:[1,1,0] neg_lo:[0,0,1] neg_hi:[0,0,1]
	ds_read2_b64 v[122:125], v116 offset0:16 offset1:81
	v_mov_b32_e32 v141, v143
	v_pk_add_f32 v[134:135], v[72:73], v[74:75] neg_lo:[0,1] neg_hi:[0,1]
	s_waitcnt lgkmcnt(0)
	v_pk_mul_f32 v[8:9], v[60:61], v[124:125]
	s_nop 0
	v_pk_fma_f32 v[48:49], v[250:251], v[124:125], v[8:9] op_sel:[0,0,1] op_sel_hi:[1,1,0]
	v_pk_fma_f32 v[60:61], v[250:251], v[124:125], v[8:9] op_sel:[0,0,1] op_sel_hi:[1,1,0] neg_lo:[0,0,1] neg_hi:[0,0,1]
	v_pk_mul_f32 v[8:9], v[32:33], v[122:123]
	v_mov_b32_e32 v49, v61
	v_pk_fma_f32 v[144:145], v[170:171], v[122:123], v[8:9] op_sel:[0,0,1] op_sel_hi:[1,1,0]
	v_pk_fma_f32 v[146:147], v[170:171], v[122:123], v[8:9] op_sel:[0,0,1] op_sel_hi:[1,1,0] neg_lo:[0,0,1] neg_hi:[0,0,1]
	ds_read2_b64 v[122:125], v118 offset0:138 offset1:203
	v_mov_b32_e32 v145, v147
	v_pk_add_f32 v[136:137], v[62:63], v[48:49] neg_lo:[0,1] neg_hi:[0,1]
	s_waitcnt lgkmcnt(0)
	v_pk_mul_f32 v[8:9], v[50:51], v[124:125]
	s_nop 0
	v_pk_fma_f32 v[50:51], v[254:255], v[124:125], v[8:9] op_sel:[0,0,1] op_sel_hi:[1,1,0]
	v_pk_fma_f32 v[148:149], v[254:255], v[124:125], v[8:9] op_sel:[0,0,1] op_sel_hi:[1,1,0] neg_lo:[0,0,1] neg_hi:[0,0,1]
	v_pk_mul_f32 v[8:9], v[26:27], v[122:123]
	v_mov_b32_e32 v51, v149
	v_pk_fma_f32 v[150:151], v[174:175], v[122:123], v[8:9] op_sel:[0,0,1] op_sel_hi:[1,1,0]
	v_pk_fma_f32 v[32:33], v[174:175], v[122:123], v[8:9] op_sel:[0,0,1] op_sel_hi:[1,1,0] neg_lo:[0,0,1] neg_hi:[0,0,1]
	ds_read2_b64 v[122:125], v119 offset0:142 offset1:207
	v_mov_b32_e32 v151, v33
	v_pk_add_f32 v[134:135], v[134:135], v[136:137]
	s_waitcnt lgkmcnt(0)
	v_pk_mul_f32 v[8:9], v[14:15], v[122:123]
	s_nop 0
	v_pk_fma_f32 v[26:27], v[10:11], v[122:123], v[8:9] op_sel:[0,0,1] op_sel_hi:[1,1,0]
	v_pk_fma_f32 v[14:15], v[10:11], v[122:123], v[8:9] op_sel:[0,0,1] op_sel_hi:[1,1,0] neg_lo:[0,0,1] neg_hi:[0,0,1]
	v_pk_mul_f32 v[8:9], v[28:29], v[124:125]
	v_mov_b32_e32 v27, v15
	v_pk_fma_f32 v[152:153], v[168:169], v[124:125], v[8:9] op_sel:[0,0,1] op_sel_hi:[1,1,0]
	v_pk_fma_f32 v[154:155], v[168:169], v[124:125], v[8:9] op_sel:[0,0,1] op_sel_hi:[1,1,0] neg_lo:[0,0,1] neg_hi:[0,0,1]
	ds_read2_b64 v[122:125], v120 offset0:20 offset1:85
	v_mov_b32_e32 v153, v155
	v_pk_add_f32 v[164:165], v[150:151], v[152:153] neg_lo:[0,1] neg_hi:[0,1]
	v_pk_add_f32 v[60:61], v[26:27], v[80:81]
	s_waitcnt lgkmcnt(0)
	v_pk_mul_f32 v[8:9], v[34:35], v[124:125]
	s_nop 0
	v_pk_fma_f32 v[34:35], v[248:249], v[124:125], v[8:9] op_sel:[0,0,1] op_sel_hi:[1,1,0]
	v_pk_fma_f32 v[156:157], v[248:249], v[124:125], v[8:9] op_sel:[0,0,1] op_sel_hi:[1,1,0] neg_lo:[0,0,1] neg_hi:[0,0,1]
	v_pk_mul_f32 v[8:9], v[30:31], v[122:123]
	v_mov_b32_e32 v35, v157
	v_pk_fma_f32 v[158:159], v[166:167], v[122:123], v[8:9] op_sel:[0,0,1] op_sel_hi:[1,1,0]
	v_pk_fma_f32 v[30:31], v[166:167], v[122:123], v[8:9] op_sel:[0,0,1] op_sel_hi:[1,1,0] neg_lo:[0,0,1] neg_hi:[0,0,1]
	ds_read_b64 v[8:9], v198 offset:12480
	v_accvgpr_read_b32 v123, a115
	v_accvgpr_read_b32 v122, a114
	v_mov_b32_e32 v159, v31
	ds_read2_b64 v[30:33], v198 offset1:65
	s_waitcnt lgkmcnt(1)
	v_pk_mul_f32 v[10:11], v[244:245], v[8:9]
	s_nop 0
	v_pk_fma_f32 v[28:29], v[122:123], v[8:9], v[10:11] op_sel:[0,0,1] op_sel_hi:[1,1,0]
	v_pk_fma_f32 v[160:161], v[122:123], v[8:9], v[10:11] op_sel:[0,0,1] op_sel_hi:[1,1,0] neg_lo:[0,0,1] neg_hi:[0,0,1]
	ds_read2_b64 v[8:11], v121 offset0:4 offset1:69
	v_mov_b32_e32 v29, v161
	v_pk_add_f32 v[14:15], v[28:29], v[80:81] neg_lo:[0,1] neg_hi:[0,1]
	v_pk_add_f32 v[128:129], v[112:113], v[28:29] neg_lo:[0,1] neg_hi:[0,1]
	s_waitcnt lgkmcnt(0)
	v_pk_mul_f32 v[24:25], v[24:25], v[10:11]
	s_nop 0
	v_pk_fma_f32 v[162:163], v[246:247], v[10:11], v[24:25] op_sel:[0,0,1] op_sel_hi:[1,1,0]
	v_pk_fma_f32 v[10:11], v[246:247], v[10:11], v[24:25] op_sel:[0,0,1] op_sel_hi:[1,1,0] neg_lo:[0,0,1] neg_hi:[0,0,1]
	v_pk_add_f32 v[24:25], v[158:159], v[152:153] neg_lo:[0,1] neg_hi:[0,1]
	v_mov_b32_e32 v163, v11
	v_pk_add_f32 v[10:11], v[162:163], v[150:151] neg_lo:[0,1] neg_hi:[0,1]
	v_pk_add_f32 v[154:155], v[162:163], v[158:159] neg_lo:[0,1] neg_hi:[0,1]
	v_pk_add_f32 v[10:11], v[10:11], v[24:25]
	v_pk_add_f32 v[24:25], v[150:151], v[152:153]
	v_pk_mul_f32 v[122:123], v[154:155], s[8:9] op_sel_hi:[1,0]
	v_pk_fma_f32 v[24:25], v[24:25], 0.5, v[30:31] op_sel_hi:[1,0,1] neg_lo:[1,0,0] neg_hi:[1,0,0]
	v_pk_fma_f32 v[60:61], v[60:61], 0.5, v[8:9] op_sel_hi:[1,0,1] neg_lo:[1,0,0] neg_hi:[1,0,0]
	v_pk_add_f32 v[124:125], v[24:25], v[122:123] op_sel:[0,1] op_sel_hi:[1,0] neg_lo:[0,1] neg_hi:[0,1]
	v_pk_add_f32 v[24:25], v[24:25], v[122:123] op_sel:[0,1] op_sel_hi:[1,0]
	v_pk_mul_f32 v[122:123], v[164:165], s[12:13] op_sel_hi:[1,0]
	s_nop 0
	v_pk_add_f32 v[24:25], v[24:25], v[122:123] op_sel:[0,1] op_sel_hi:[1,0]
	v_pk_add_f32 v[166:167], v[124:125], v[122:123] op_sel:[0,1] op_sel_hi:[1,0] neg_lo:[0,1] neg_hi:[0,1]
	v_pk_add_f32 v[122:123], v[30:31], v[162:163]
	v_mov_b32_e32 v170, v166
	v_pk_add_f32 v[122:123], v[122:123], v[150:151]
	v_pk_add_f32 v[150:151], v[150:151], v[162:163] neg_lo:[0,1] neg_hi:[0,1]
	v_pk_add_f32 v[122:123], v[122:123], v[152:153]
	v_pk_add_f32 v[162:163], v[162:163], v[158:159]
	v_pk_add_f32 v[152:153], v[152:153], v[158:159] neg_lo:[0,1] neg_hi:[0,1]
	v_pk_fma_f32 v[30:31], v[162:163], 0.5, v[30:31] op_sel_hi:[1,0,1] neg_lo:[1,0,0] neg_hi:[1,0,0]
	v_pk_add_f32 v[150:151], v[150:151], v[152:153]
	v_pk_mul_f32 v[152:153], v[164:165], s[8:9] op_sel_hi:[1,0]
	v_pk_add_f32 v[168:169], v[122:123], v[158:159]
	v_pk_add_f32 v[158:159], v[30:31], v[152:153] op_sel:[0,1] op_sel_hi:[1,0]
	v_pk_add_f32 v[30:31], v[30:31], v[152:153] op_sel:[0,1] op_sel_hi:[1,0] neg_lo:[0,1] neg_hi:[0,1]
	v_pk_mul_f32 v[152:153], v[154:155], s[12:13] op_sel_hi:[1,0]
	v_mov_b32_e32 v171, v25
	v_pk_add_f32 v[30:31], v[30:31], v[152:153] op_sel:[0,1] op_sel_hi:[1,0]
	v_pk_add_f32 v[152:153], v[158:159], v[152:153] op_sel:[0,1] op_sel_hi:[1,0] neg_lo:[0,1] neg_hi:[0,1]
	v_mov_b32_e32 v25, v167
	v_pk_fma_f32 v[170:171], v[10:11], s[0:1], v[170:171] op_sel_hi:[1,0,1]
	v_mov_b32_e32 v154, v152
	v_mov_b32_e32 v155, v31
	;; [unrolled: 1-line block ×3, first 2 shown]
	v_pk_fma_f32 v[10:11], v[10:11], s[0:1], v[24:25] op_sel_hi:[1,0,1]
	ds_read2_b64 v[122:125], v198 offset0:130 offset1:195
	s_waitcnt lgkmcnt(0)
	s_barrier
	v_pk_fma_f32 v[152:153], v[150:151], s[0:1], v[154:155] op_sel_hi:[1,0,1]
	v_pk_fma_f32 v[30:31], v[150:151], s[0:1], v[30:31] op_sel_hi:[1,0,1]
	ds_write_b64 v12, v[10:11] offset:416
	v_pk_add_f32 v[10:11], v[140:141], v[50:51] neg_lo:[0,1] neg_hi:[0,1]
	v_pk_add_f32 v[24:25], v[34:35], v[144:145] neg_lo:[0,1] neg_hi:[0,1]
	ds_write2_b64 v12, v[152:153], v[30:31] offset0:26 offset1:39
	v_pk_add_f32 v[10:11], v[10:11], v[24:25]
	v_pk_add_f32 v[24:25], v[50:51], v[144:145]
	v_pk_add_f32 v[30:31], v[140:141], v[34:35] neg_lo:[0,1] neg_hi:[0,1]
	v_pk_fma_f32 v[24:25], v[24:25], 0.5, v[32:33] op_sel_hi:[1,0,1] neg_lo:[1,0,0] neg_hi:[1,0,0]
	v_pk_mul_f32 v[142:143], v[30:31], s[8:9] op_sel_hi:[1,0]
	ds_write2_b64 v12, v[168:169], v[170:171] offset1:13
	v_pk_add_f32 v[146:147], v[24:25], v[142:143] op_sel:[0,1] op_sel_hi:[1,0] neg_lo:[0,1] neg_hi:[0,1]
	v_pk_add_f32 v[24:25], v[24:25], v[142:143] op_sel:[0,1] op_sel_hi:[1,0]
	v_pk_add_f32 v[142:143], v[50:51], v[144:145] neg_lo:[0,1] neg_hi:[0,1]
	v_pk_mul_f32 v[30:31], v[30:31], s[12:13] op_sel_hi:[1,0]
	v_pk_mul_f32 v[148:149], v[142:143], s[12:13] op_sel_hi:[1,0]
	v_pk_add_f32 v[12:13], v[112:113], v[26:27] neg_lo:[0,1] neg_hi:[0,1]
	v_pk_add_f32 v[150:151], v[24:25], v[148:149] op_sel:[0,1] op_sel_hi:[1,0]
	v_pk_add_f32 v[24:25], v[146:147], v[148:149] op_sel:[0,1] op_sel_hi:[1,0] neg_lo:[0,1] neg_hi:[0,1]
	v_pk_add_f32 v[146:147], v[32:33], v[140:141]
	v_mov_b32_e32 v148, v24
	v_pk_add_f32 v[146:147], v[146:147], v[50:51]
	v_mov_b32_e32 v149, v151
	v_pk_add_f32 v[146:147], v[146:147], v[144:145]
	v_pk_fma_f32 v[148:149], v[10:11], s[0:1], v[148:149] op_sel_hi:[1,0,1]
	v_pk_add_f32 v[146:147], v[146:147], v[34:35]
	ds_write2_b64 v132, v[146:147], v[148:149] offset1:13
	v_pk_add_f32 v[146:147], v[140:141], v[34:35]
	v_pk_add_f32 v[50:51], v[50:51], v[140:141] neg_lo:[0,1] neg_hi:[0,1]
	v_pk_add_f32 v[34:35], v[144:145], v[34:35] neg_lo:[0,1] neg_hi:[0,1]
	v_pk_fma_f32 v[32:33], v[146:147], 0.5, v[32:33] op_sel_hi:[1,0,1] neg_lo:[1,0,0] neg_hi:[1,0,0]
	v_pk_add_f32 v[34:35], v[50:51], v[34:35]
	v_pk_mul_f32 v[50:51], v[142:143], s[8:9] op_sel_hi:[1,0]
	v_mov_b32_e32 v151, v25
	v_pk_add_f32 v[130:131], v[32:33], v[50:51] op_sel:[0,1] op_sel_hi:[1,0]
	v_pk_add_f32 v[32:33], v[32:33], v[50:51] op_sel:[0,1] op_sel_hi:[1,0] neg_lo:[0,1] neg_hi:[0,1]
	v_pk_fma_f32 v[10:11], v[10:11], s[0:1], v[150:151] op_sel_hi:[1,0,1]
	v_pk_add_f32 v[32:33], v[32:33], v[30:31] op_sel:[0,1] op_sel_hi:[1,0]
	v_pk_add_f32 v[30:31], v[130:131], v[30:31] op_sel:[0,1] op_sel_hi:[1,0] neg_lo:[0,1] neg_hi:[0,1]
	v_mov_b32_e32 v131, v33
	v_mov_b32_e32 v130, v30
	;; [unrolled: 1-line block ×3, first 2 shown]
	v_pk_fma_f32 v[130:131], v[34:35], s[0:1], v[130:131] op_sel_hi:[1,0,1]
	v_pk_fma_f32 v[32:33], v[34:35], s[0:1], v[32:33] op_sel_hi:[1,0,1]
	v_pk_add_f32 v[34:35], v[122:123], v[72:73]
	ds_write2_b64 v132, v[130:131], v[32:33] offset0:26 offset1:39
	v_pk_add_f32 v[34:35], v[34:35], v[74:75]
	ds_write_b64 v132, v[10:11] offset:416
	v_pk_add_f32 v[10:11], v[74:75], v[48:49]
	v_pk_add_f32 v[32:33], v[72:73], v[62:63] neg_lo:[0,1] neg_hi:[0,1]
	v_pk_add_f32 v[34:35], v[34:35], v[48:49]
	v_pk_fma_f32 v[10:11], v[10:11], 0.5, v[122:123] op_sel_hi:[1,0,1] neg_lo:[1,0,0] neg_hi:[1,0,0]
	v_pk_mul_f32 v[130:131], v[32:33], s[8:9] op_sel_hi:[1,0]
	v_pk_add_f32 v[132:133], v[74:75], v[48:49] neg_lo:[0,1] neg_hi:[0,1]
	v_pk_add_f32 v[74:75], v[74:75], v[72:73] neg_lo:[0,1] neg_hi:[0,1]
	v_pk_add_f32 v[72:73], v[72:73], v[62:63]
	v_pk_add_f32 v[48:49], v[48:49], v[62:63] neg_lo:[0,1] neg_hi:[0,1]
	v_pk_add_f32 v[136:137], v[10:11], v[130:131] op_sel:[0,1] op_sel_hi:[1,0] neg_lo:[0,1] neg_hi:[0,1]
	v_pk_add_f32 v[10:11], v[10:11], v[130:131] op_sel:[0,1] op_sel_hi:[1,0]
	v_pk_mul_f32 v[130:131], v[132:133], s[12:13] op_sel_hi:[1,0]
	v_pk_fma_f32 v[72:73], v[72:73], 0.5, v[122:123] op_sel_hi:[1,0,1] neg_lo:[1,0,0] neg_hi:[1,0,0]
	v_pk_add_f32 v[48:49], v[74:75], v[48:49]
	v_pk_mul_f32 v[74:75], v[132:133], s[8:9] op_sel_hi:[1,0]
	v_accvgpr_read_b32 v146, a22
	v_pk_add_f32 v[10:11], v[10:11], v[130:131] op_sel:[0,1] op_sel_hi:[1,0]
	v_pk_add_f32 v[130:131], v[136:137], v[130:131] op_sel:[0,1] op_sel_hi:[1,0] neg_lo:[0,1] neg_hi:[0,1]
	v_pk_add_f32 v[122:123], v[72:73], v[74:75] op_sel:[0,1] op_sel_hi:[1,0]
	v_pk_add_f32 v[72:73], v[72:73], v[74:75] op_sel:[0,1] op_sel_hi:[1,0] neg_lo:[0,1] neg_hi:[0,1]
	v_pk_mul_f32 v[32:33], v[32:33], s[12:13] op_sel_hi:[1,0]
	v_pk_add_f32 v[126:127], v[12:13], v[14:15]
	v_mov_b32_e32 v12, s10
	v_mov_b32_e32 v13, s11
	v_mad_u64_u32 v[14:15], s[10:11], s6, v146, 0
	v_pk_add_f32 v[34:35], v[34:35], v[62:63]
	v_mov_b32_e32 v137, v11
	v_pk_add_f32 v[62:63], v[82:83], v[56:57]
	v_pk_add_f32 v[72:73], v[72:73], v[32:33] op_sel:[0,1] op_sel_hi:[1,0]
	v_pk_add_f32 v[32:33], v[122:123], v[32:33] op_sel:[0,1] op_sel_hi:[1,0] neg_lo:[0,1] neg_hi:[0,1]
	v_mov_b32_e32 v11, v131
	v_mov_b32_e32 v24, v15
	;; [unrolled: 1-line block ×3, first 2 shown]
	v_accvgpr_read_b32 v15, a32
	v_pk_fma_f32 v[62:63], v[62:63], 0.5, v[124:125] op_sel_hi:[1,0,1] neg_lo:[1,0,0] neg_hi:[1,0,0]
	v_pk_add_f32 v[74:75], v[114:115], v[58:59] neg_lo:[0,1] neg_hi:[0,1]
	v_mov_b32_e32 v122, v32
	v_mov_b32_e32 v123, v73
	;; [unrolled: 1-line block ×3, first 2 shown]
	v_pk_fma_f32 v[10:11], v[134:135], s[0:1], v[10:11] op_sel_hi:[1,0,1]
	v_pk_fma_f32 v[136:137], v[134:135], s[0:1], v[136:137] op_sel_hi:[1,0,1]
	v_pk_add_f32 v[32:33], v[82:83], v[56:57] neg_lo:[0,1] neg_hi:[0,1]
	v_pk_fma_f32 v[122:123], v[48:49], s[0:1], v[122:123] op_sel_hi:[1,0,1]
	v_pk_fma_f32 v[48:49], v[48:49], s[0:1], v[72:73] op_sel_hi:[1,0,1]
	v_pk_fma_f32 v[72:73], v[74:75], s[8:9], v[62:63] op_sel:[1,0,0] op_sel_hi:[0,0,1]
	v_pk_fma_f32 v[62:63], v[74:75], s[8:9], v[62:63] op_sel:[1,0,0] op_sel_hi:[0,0,1] neg_lo:[1,0,0] neg_hi:[1,0,0]
	ds_write_b64 v15, v[10:11] offset:416
	v_pk_add_f32 v[10:11], v[124:125], v[114:115]
	ds_write2_b64 v15, v[34:35], v[136:137] offset1:13
	v_pk_add_f32 v[34:35], v[114:115], v[82:83] neg_lo:[0,1] neg_hi:[0,1]
	v_pk_add_f32 v[136:137], v[58:59], v[56:57] neg_lo:[0,1] neg_hi:[0,1]
	v_pk_fma_f32 v[62:63], v[32:33], s[12:13], v[62:63] op_sel:[1,0,0] op_sel_hi:[0,0,1] neg_lo:[1,0,0] neg_hi:[1,0,0]
	v_pk_fma_f32 v[72:73], v[32:33], s[12:13], v[72:73] op_sel:[1,0,0] op_sel_hi:[0,0,1]
	v_pk_add_f32 v[10:11], v[10:11], v[82:83]
	v_pk_add_f32 v[34:35], v[34:35], v[136:137]
	ds_write2_b64 v15, v[122:123], v[48:49] offset0:26 offset1:39
	v_mov_b32_e32 v48, v72
	v_mov_b32_e32 v49, v63
	v_pk_add_f32 v[10:11], v[10:11], v[56:57]
	v_mov_b32_e32 v63, v73
	v_pk_fma_f32 v[48:49], v[34:35], s[0:1], v[48:49] op_sel_hi:[1,0,1]
	v_pk_add_f32 v[10:11], v[10:11], v[58:59]
	v_pk_fma_f32 v[34:35], v[34:35], s[0:1], v[62:63] op_sel_hi:[1,0,1]
	v_accvgpr_read_b32 v15, a13
	ds_write2_b64 v15, v[10:11], v[34:35] offset1:13
	v_pk_add_f32 v[10:11], v[114:115], v[58:59]
	v_pk_add_f32 v[34:35], v[82:83], v[114:115] neg_lo:[0,1] neg_hi:[0,1]
	v_pk_fma_f32 v[10:11], v[10:11], 0.5, v[124:125] op_sel_hi:[1,0,1] neg_lo:[1,0,0] neg_hi:[1,0,0]
	v_pk_add_f32 v[56:57], v[56:57], v[58:59] neg_lo:[0,1] neg_hi:[0,1]
	v_pk_add_f32 v[50:51], v[26:27], v[80:81] neg_lo:[0,1] neg_hi:[0,1]
	v_pk_add_f32 v[34:35], v[34:35], v[56:57]
	v_pk_fma_f32 v[56:57], v[32:33], s[8:9], v[10:11] op_sel:[1,0,0] op_sel_hi:[0,0,1] neg_lo:[1,0,0] neg_hi:[1,0,0]
	v_pk_fma_f32 v[10:11], v[32:33], s[8:9], v[10:11] op_sel:[1,0,0] op_sel_hi:[0,0,1]
	v_pk_fma_f32 v[10:11], v[74:75], s[12:13], v[10:11] op_sel:[1,0,0] op_sel_hi:[0,0,1] neg_lo:[1,0,0] neg_hi:[1,0,0]
	v_pk_fma_f32 v[32:33], v[74:75], s[12:13], v[56:57] op_sel:[1,0,0] op_sel_hi:[0,0,1]
	v_mov_b32_e32 v56, v32
	v_mov_b32_e32 v57, v11
	;; [unrolled: 1-line block ×3, first 2 shown]
	v_pk_fma_f32 v[56:57], v[34:35], s[0:1], v[56:57] op_sel_hi:[1,0,1]
	v_pk_fma_f32 v[10:11], v[34:35], s[0:1], v[10:11] op_sel_hi:[1,0,1]
	v_pk_fma_f32 v[30:31], v[128:129], s[8:9], v[60:61] op_sel:[1,0,0] op_sel_hi:[0,0,1]
	v_pk_fma_f32 v[60:61], v[128:129], s[8:9], v[60:61] op_sel:[1,0,0] op_sel_hi:[0,0,1] neg_lo:[1,0,0] neg_hi:[1,0,0]
	ds_write2_b64 v15, v[10:11], v[56:57] offset0:26 offset1:39
	ds_write_b64 v15, v[48:49] offset:416
	v_pk_add_f32 v[10:11], v[8:9], v[112:113]
	v_pk_fma_f32 v[60:61], v[50:51], s[12:13], v[60:61] op_sel:[1,0,0] op_sel_hi:[0,0,1] neg_lo:[1,0,0] neg_hi:[1,0,0]
	v_pk_fma_f32 v[30:31], v[50:51], s[12:13], v[30:31] op_sel:[1,0,0] op_sel_hi:[0,0,1]
	v_pk_add_f32 v[10:11], v[10:11], v[26:27]
	v_mov_b32_e32 v137, v61
	v_pk_add_f32 v[10:11], v[10:11], v[80:81]
	v_mov_b32_e32 v61, v31
	v_mov_b32_e32 v136, v30
	v_pk_add_f32 v[10:11], v[10:11], v[28:29]
	v_pk_fma_f32 v[30:31], v[126:127], s[0:1], v[60:61] op_sel_hi:[1,0,1]
	ds_write2_b64 v227, v[10:11], v[30:31] offset1:13
	v_pk_add_f32 v[10:11], v[112:113], v[28:29]
	v_pk_fma_f32 v[136:137], v[126:127], s[0:1], v[136:137] op_sel_hi:[1,0,1]
	v_pk_fma_f32 v[8:9], v[10:11], 0.5, v[8:9] op_sel_hi:[1,0,1] neg_lo:[1,0,0] neg_hi:[1,0,0]
	v_pk_add_f32 v[10:11], v[26:27], v[112:113] neg_lo:[0,1] neg_hi:[0,1]
	v_pk_add_f32 v[26:27], v[80:81], v[28:29] neg_lo:[0,1] neg_hi:[0,1]
	v_accvgpr_read_b32 v145, a75
	v_pk_add_f32 v[10:11], v[10:11], v[26:27]
	v_pk_fma_f32 v[26:27], v[50:51], s[8:9], v[8:9] op_sel:[1,0,0] op_sel_hi:[0,0,1] neg_lo:[1,0,0] neg_hi:[1,0,0]
	v_pk_fma_f32 v[8:9], v[50:51], s[8:9], v[8:9] op_sel:[1,0,0] op_sel_hi:[0,0,1]
	v_pk_fma_f32 v[8:9], v[128:129], s[12:13], v[8:9] op_sel:[1,0,0] op_sel_hi:[0,0,1] neg_lo:[1,0,0] neg_hi:[1,0,0]
	v_pk_fma_f32 v[26:27], v[128:129], s[12:13], v[26:27] op_sel:[1,0,0] op_sel_hi:[0,0,1]
	v_mov_b32_e32 v28, v26
	v_mov_b32_e32 v29, v9
	;; [unrolled: 1-line block ×3, first 2 shown]
	v_pk_fma_f32 v[28:29], v[10:11], s[0:1], v[28:29] op_sel_hi:[1,0,1]
	v_pk_fma_f32 v[8:9], v[10:11], s[0:1], v[8:9] op_sel_hi:[1,0,1]
	ds_write2_b64 v227, v[8:9], v[28:29] offset0:26 offset1:39
	ds_write_b64 v227, v[136:137] offset:416
	s_waitcnt lgkmcnt(0)
	s_barrier
	ds_read2_b64 v[8:11], v121 offset0:4 offset1:69
	ds_read2_b64 v[26:29], v198 offset1:65
	ds_read2_b64 v[30:33], v118 offset0:138 offset1:203
	ds_read2_b64 v[48:51], v119 offset0:142 offset1:207
	;; [unrolled: 1-line block ×3, first 2 shown]
	s_waitcnt lgkmcnt(4)
	v_pk_mul_f32 v[34:35], v[4:5], v[10:11]
	v_accvgpr_read_b32 v144, a74
	v_pk_fma_f32 v[60:61], v[236:237], v[10:11], v[34:35] op_sel:[0,0,1] op_sel_hi:[1,1,0]
	v_pk_fma_f32 v[10:11], v[236:237], v[10:11], v[34:35] op_sel:[0,0,1] op_sel_hi:[1,1,0] neg_lo:[0,0,1] neg_hi:[0,0,1]
	v_accvgpr_read_b32 v149, a79
	v_mov_b32_e32 v61, v11
	s_waitcnt lgkmcnt(2)
	v_pk_mul_f32 v[10:11], v[6:7], v[30:31]
	v_accvgpr_read_b32 v148, a78
	v_pk_fma_f32 v[34:35], v[238:239], v[30:31], v[10:11] op_sel:[0,0,1] op_sel_hi:[1,1,0]
	v_pk_fma_f32 v[10:11], v[238:239], v[30:31], v[10:11] op_sel:[0,0,1] op_sel_hi:[1,1,0] neg_lo:[0,0,1] neg_hi:[0,0,1]
	v_accvgpr_read_b32 v151, a97
	v_mov_b32_e32 v35, v11
	s_waitcnt lgkmcnt(1)
	v_pk_mul_f32 v[10:11], v[0:1], v[50:51]
	v_pk_add_f32 v[82:83], v[60:61], v[34:35] neg_lo:[0,1] neg_hi:[0,1]
	v_pk_fma_f32 v[30:31], v[144:145], v[50:51], v[10:11] op_sel:[0,0,1] op_sel_hi:[1,1,0]
	v_pk_fma_f32 v[10:11], v[144:145], v[50:51], v[10:11] op_sel:[0,0,1] op_sel_hi:[1,1,0] neg_lo:[0,0,1] neg_hi:[0,0,1]
	v_accvgpr_read_b32 v150, a96
	v_mov_b32_e32 v31, v11
	s_waitcnt lgkmcnt(0)
	v_pk_mul_f32 v[10:11], v[2:3], v[56:57]
	v_pk_add_f32 v[74:75], v[34:35], v[30:31] neg_lo:[0,1] neg_hi:[0,1]
	v_pk_fma_f32 v[50:51], v[148:149], v[56:57], v[10:11] op_sel:[0,0,1] op_sel_hi:[1,1,0]
	v_pk_fma_f32 v[10:11], v[148:149], v[56:57], v[10:11] op_sel:[0,0,1] op_sel_hi:[1,1,0] neg_lo:[0,0,1] neg_hi:[0,0,1]
	v_pk_mul_f32 v[80:81], v[74:75], s[12:13] op_sel_hi:[1,0]
	v_mov_b32_e32 v51, v11
	v_pk_add_f32 v[10:11], v[26:27], v[60:61]
	v_pk_add_f32 v[62:63], v[60:61], v[50:51] neg_lo:[0,1] neg_hi:[0,1]
	v_pk_add_f32 v[10:11], v[10:11], v[34:35]
	v_pk_mul_f32 v[72:73], v[62:63], s[8:9] op_sel_hi:[1,0]
	v_pk_add_f32 v[10:11], v[10:11], v[30:31]
	v_pk_add_f32 v[112:113], v[50:51], v[30:31] neg_lo:[0,1] neg_hi:[0,1]
	v_pk_add_f32 v[56:57], v[10:11], v[50:51]
	v_pk_add_f32 v[10:11], v[34:35], v[30:31]
	;; [unrolled: 1-line block ×3, first 2 shown]
	v_pk_fma_f32 v[10:11], v[10:11], 0.5, v[26:27] op_sel_hi:[1,0,1] neg_lo:[1,0,0] neg_hi:[1,0,0]
	v_pk_add_f32 v[34:35], v[34:35], v[60:61] neg_lo:[0,1] neg_hi:[0,1]
	v_pk_add_f32 v[112:113], v[10:11], v[72:73] op_sel:[0,1] op_sel_hi:[1,0] neg_lo:[0,1] neg_hi:[0,1]
	v_pk_add_f32 v[10:11], v[10:11], v[72:73] op_sel:[0,1] op_sel_hi:[1,0]
	v_pk_add_f32 v[72:73], v[112:113], v[80:81] op_sel:[0,1] op_sel_hi:[1,0] neg_lo:[0,1] neg_hi:[0,1]
	v_pk_add_f32 v[112:113], v[60:61], v[50:51]
	v_pk_add_f32 v[30:31], v[30:31], v[50:51] neg_lo:[0,1] neg_hi:[0,1]
	v_pk_fma_f32 v[26:27], v[112:113], 0.5, v[26:27] op_sel_hi:[1,0,1] neg_lo:[1,0,0] neg_hi:[1,0,0]
	v_pk_add_f32 v[30:31], v[34:35], v[30:31]
	v_pk_mul_f32 v[34:35], v[74:75], s[8:9] op_sel_hi:[1,0]
	v_pk_mul_f32 v[50:51], v[62:63], s[12:13] op_sel_hi:[1,0]
	v_pk_add_f32 v[60:61], v[26:27], v[34:35] op_sel:[0,1] op_sel_hi:[1,0]
	v_pk_add_f32 v[26:27], v[26:27], v[34:35] op_sel:[0,1] op_sel_hi:[1,0] neg_lo:[0,1] neg_hi:[0,1]
	v_pk_add_f32 v[34:35], v[60:61], v[50:51] op_sel:[0,1] op_sel_hi:[1,0] neg_lo:[0,1] neg_hi:[0,1]
	ds_read2_b64 v[60:63], v118 offset0:8 offset1:73
	v_pk_add_f32 v[26:27], v[26:27], v[50:51] op_sel:[0,1] op_sel_hi:[1,0]
	v_mov_b32_e32 v50, v34
	v_mov_b32_e32 v51, v27
	v_pk_add_f32 v[10:11], v[10:11], v[80:81] op_sel:[0,1] op_sel_hi:[1,0]
	v_pk_fma_f32 v[112:113], v[30:31], s[0:1], v[50:51] op_sel_hi:[1,0,1]
	s_waitcnt lgkmcnt(0)
	v_pk_mul_f32 v[50:51], v[52:53], v[62:63]
	v_accvgpr_read_b32 v52, a102
	v_mov_b32_e32 v81, v11
	v_mov_b32_e32 v27, v35
	;; [unrolled: 1-line block ×3, first 2 shown]
	v_accvgpr_read_b32 v53, a103
	v_mov_b32_e32 v80, v72
	v_pk_fma_f32 v[26:27], v[30:31], s[0:1], v[26:27] op_sel_hi:[1,0,1]
	v_pk_fma_f32 v[30:31], v[82:83], s[0:1], v[10:11] op_sel_hi:[1,0,1]
	ds_read2_b64 v[72:75], v116 offset0:146 offset1:211
	ds_read_b64 v[34:35], v198 offset:12480
	v_pk_fma_f32 v[10:11], v[52:53], v[62:63], v[50:51] op_sel:[0,0,1] op_sel_hi:[1,1,0]
	v_pk_fma_f32 v[50:51], v[52:53], v[62:63], v[50:51] op_sel:[0,0,1] op_sel_hi:[1,1,0] neg_lo:[0,0,1] neg_hi:[0,0,1]
	v_accvgpr_read_b32 v52, a110
	v_mov_b32_e32 v11, v51
	v_pk_mul_f32 v[50:51], v[54:55], v[48:49]
	v_accvgpr_read_b32 v53, a111
	v_pk_fma_f32 v[62:63], v[52:53], v[48:49], v[50:51] op_sel:[0,0,1] op_sel_hi:[1,1,0]
	v_pk_fma_f32 v[48:49], v[52:53], v[48:49], v[50:51] op_sel:[0,0,1] op_sel_hi:[1,1,0] neg_lo:[0,0,1] neg_hi:[0,0,1]
	s_waitcnt lgkmcnt(1)
	v_pk_mul_f32 v[44:45], v[44:45], v[74:75]
	v_mov_b32_e32 v63, v49
	v_accvgpr_read_b32 v48, a108
	v_accvgpr_read_b32 v49, a109
	v_pk_fma_f32 v[80:81], v[82:83], s[0:1], v[80:81] op_sel_hi:[1,0,1]
	v_pk_fma_f32 v[82:83], v[48:49], v[74:75], v[44:45] op_sel:[0,0,1] op_sel_hi:[1,1,0]
	v_pk_fma_f32 v[44:45], v[48:49], v[74:75], v[44:45] op_sel:[0,0,1] op_sel_hi:[1,1,0] neg_lo:[0,0,1] neg_hi:[0,0,1]
	v_accvgpr_read_b32 v15, a35
	v_mov_b32_e32 v83, v45
	s_waitcnt lgkmcnt(0)
	v_pk_mul_f32 v[44:45], v[46:47], v[34:35]
	v_accvgpr_read_b32 v46, a112
	v_accvgpr_read_b32 v47, a113
	v_pk_fma_f32 v[74:75], v[46:47], v[34:35], v[44:45] op_sel:[0,0,1] op_sel_hi:[1,1,0]
	v_pk_fma_f32 v[34:35], v[46:47], v[34:35], v[44:45] op_sel:[0,0,1] op_sel_hi:[1,1,0] neg_lo:[0,0,1] neg_hi:[0,0,1]
	v_pk_add_f32 v[44:45], v[10:11], v[62:63] neg_lo:[0,1] neg_hi:[0,1]
	v_mov_b32_e32 v75, v35
	v_pk_add_f32 v[34:35], v[62:63], v[82:83]
	v_pk_add_f32 v[114:115], v[10:11], v[74:75] neg_lo:[0,1] neg_hi:[0,1]
	v_pk_fma_f32 v[34:35], v[34:35], 0.5, v[8:9] op_sel_hi:[1,0,1] neg_lo:[1,0,0] neg_hi:[1,0,0]
	v_pk_add_f32 v[46:47], v[74:75], v[82:83] neg_lo:[0,1] neg_hi:[0,1]
	v_pk_add_f32 v[122:123], v[62:63], v[82:83] neg_lo:[0,1] neg_hi:[0,1]
	v_pk_add_f32 v[124:125], v[44:45], v[46:47]
	v_pk_fma_f32 v[44:45], v[114:115], s[8:9], v[34:35] op_sel:[1,0,0] op_sel_hi:[0,0,1]
	v_pk_fma_f32 v[34:35], v[114:115], s[8:9], v[34:35] op_sel:[1,0,0] op_sel_hi:[0,0,1] neg_lo:[1,0,0] neg_hi:[1,0,0]
	v_pk_fma_f32 v[126:127], v[122:123], s[12:13], v[34:35] op_sel:[1,0,0] op_sel_hi:[0,0,1] neg_lo:[1,0,0] neg_hi:[1,0,0]
	v_pk_fma_f32 v[128:129], v[122:123], s[12:13], v[44:45] op_sel:[1,0,0] op_sel_hi:[0,0,1]
	v_mov_b32_e32 v34, v128
	v_mov_b32_e32 v35, v127
	ds_read2_b64 v[44:47], v198 offset0:130 offset1:195
	ds_read2_b64 v[48:51], v119 offset0:12 offset1:77
	ds_read2_b64 v[52:55], v120 offset0:150 offset1:215
	v_pk_fma_f32 v[130:131], v[124:125], s[0:1], v[34:35] op_sel_hi:[1,0,1]
	v_pk_mul_f32 v[34:35], v[40:41], v[60:61]
	v_accvgpr_read_b32 v40, a98
	v_accvgpr_read_b32 v41, a99
	v_pk_fma_f32 v[132:133], v[40:41], v[60:61], v[34:35] op_sel:[0,0,1] op_sel_hi:[1,1,0]
	v_pk_fma_f32 v[34:35], v[40:41], v[60:61], v[34:35] op_sel:[0,0,1] op_sel_hi:[1,1,0] neg_lo:[0,0,1] neg_hi:[0,0,1]
	v_accvgpr_read_b32 v40, a100
	v_mov_b32_e32 v133, v35
	s_waitcnt lgkmcnt(1)
	v_pk_mul_f32 v[34:35], v[42:43], v[50:51]
	v_accvgpr_read_b32 v41, a101
	v_pk_fma_f32 v[42:43], v[40:41], v[50:51], v[34:35] op_sel:[0,0,1] op_sel_hi:[1,1,0]
	v_pk_fma_f32 v[34:35], v[40:41], v[50:51], v[34:35] op_sel:[0,0,1] op_sel_hi:[1,1,0] neg_lo:[0,0,1] neg_hi:[0,0,1]
	v_mov_b32_e32 v127, v129
	v_mov_b32_e32 v43, v35
	v_pk_mul_f32 v[34:35], v[36:37], v[72:73]
	v_accvgpr_read_b32 v36, a104
	v_accvgpr_read_b32 v37, a105
	v_pk_fma_f32 v[50:51], v[36:37], v[72:73], v[34:35] op_sel:[0,0,1] op_sel_hi:[1,1,0]
	v_pk_fma_f32 v[34:35], v[36:37], v[72:73], v[34:35] op_sel:[0,0,1] op_sel_hi:[1,1,0] neg_lo:[0,0,1] neg_hi:[0,0,1]
	v_accvgpr_read_b32 v36, a106
	v_mov_b32_e32 v51, v35
	s_waitcnt lgkmcnt(0)
	v_pk_mul_f32 v[34:35], v[38:39], v[54:55]
	v_accvgpr_read_b32 v37, a107
	v_pk_fma_f32 v[60:61], v[36:37], v[54:55], v[34:35] op_sel:[0,0,1] op_sel_hi:[1,1,0]
	v_pk_fma_f32 v[34:35], v[36:37], v[54:55], v[34:35] op_sel:[0,0,1] op_sel_hi:[1,1,0] neg_lo:[0,0,1] neg_hi:[0,0,1]
	v_pk_add_f32 v[36:37], v[132:133], v[42:43] neg_lo:[0,1] neg_hi:[0,1]
	v_mov_b32_e32 v61, v35
	v_pk_add_f32 v[34:35], v[42:43], v[50:51]
	v_pk_add_f32 v[54:55], v[132:133], v[60:61] neg_lo:[0,1] neg_hi:[0,1]
	v_pk_fma_f32 v[34:35], v[34:35], 0.5, v[46:47] op_sel_hi:[1,0,1] neg_lo:[1,0,0] neg_hi:[1,0,0]
	v_pk_add_f32 v[38:39], v[60:61], v[50:51] neg_lo:[0,1] neg_hi:[0,1]
	v_pk_add_f32 v[72:73], v[42:43], v[50:51] neg_lo:[0,1] neg_hi:[0,1]
	v_pk_add_f32 v[134:135], v[36:37], v[38:39]
	v_pk_fma_f32 v[36:37], v[54:55], s[8:9], v[34:35] op_sel:[1,0,0] op_sel_hi:[0,0,1]
	v_pk_fma_f32 v[34:35], v[54:55], s[8:9], v[34:35] op_sel:[1,0,0] op_sel_hi:[0,0,1] neg_lo:[1,0,0] neg_hi:[1,0,0]
	v_pk_fma_f32 v[136:137], v[72:73], s[12:13], v[34:35] op_sel:[1,0,0] op_sel_hi:[0,0,1] neg_lo:[1,0,0] neg_hi:[1,0,0]
	v_pk_fma_f32 v[138:139], v[72:73], s[12:13], v[36:37] op_sel:[1,0,0] op_sel_hi:[0,0,1]
	ds_read2_b64 v[34:37], v121 offset0:134 offset1:199
	v_mov_b32_e32 v38, v138
	v_mov_b32_e32 v39, v137
	v_pk_fma_f32 v[140:141], v[134:135], s[0:1], v[38:39] op_sel_hi:[1,0,1]
	ds_read2_b64 v[38:41], v116 offset0:16 offset1:81
	s_waitcnt lgkmcnt(1)
	v_pk_mul_f32 v[20:21], v[20:21], v[36:37]
	v_pk_mul_f32 v[4:5], v[4:5], v[34:35]
	v_pk_fma_f32 v[142:143], v[150:151], v[36:37], v[20:21] op_sel:[0,0,1] op_sel_hi:[1,1,0]
	v_pk_fma_f32 v[20:21], v[150:151], v[36:37], v[20:21] op_sel:[0,0,1] op_sel_hi:[1,1,0] neg_lo:[0,0,1] neg_hi:[0,0,1]
	v_accvgpr_read_b32 v36, a94
	v_mov_b32_e32 v143, v21
	v_pk_mul_f32 v[20:21], v[22:23], v[48:49]
	v_accvgpr_read_b32 v37, a95
	v_pk_fma_f32 v[22:23], v[36:37], v[48:49], v[20:21] op_sel:[0,0,1] op_sel_hi:[1,1,0]
	v_pk_fma_f32 v[20:21], v[36:37], v[48:49], v[20:21] op_sel:[0,0,1] op_sel_hi:[1,1,0] neg_lo:[0,0,1] neg_hi:[0,0,1]
	v_accvgpr_read_b32 v36, a90
	s_waitcnt lgkmcnt(0)
	v_pk_mul_f32 v[16:17], v[16:17], v[40:41]
	v_accvgpr_read_b32 v37, a91
	v_mov_b32_e32 v23, v21
	v_pk_fma_f32 v[20:21], v[36:37], v[40:41], v[16:17] op_sel:[0,0,1] op_sel_hi:[1,1,0]
	v_pk_fma_f32 v[16:17], v[36:37], v[40:41], v[16:17] op_sel:[0,0,1] op_sel_hi:[1,1,0] neg_lo:[0,0,1] neg_hi:[0,0,1]
	v_accvgpr_read_b32 v36, a92
	v_mov_b32_e32 v21, v17
	v_pk_mul_f32 v[16:17], v[18:19], v[52:53]
	v_accvgpr_read_b32 v37, a93
	v_pk_fma_f32 v[18:19], v[36:37], v[52:53], v[16:17] op_sel:[0,0,1] op_sel_hi:[1,1,0]
	v_pk_fma_f32 v[16:17], v[36:37], v[52:53], v[16:17] op_sel:[0,0,1] op_sel_hi:[1,1,0] neg_lo:[0,0,1] neg_hi:[0,0,1]
	v_pk_fma_f32 v[36:37], v[236:237], v[34:35], v[4:5] op_sel:[0,0,1] op_sel_hi:[1,1,0]
	v_pk_fma_f32 v[4:5], v[236:237], v[34:35], v[4:5] op_sel:[0,0,1] op_sel_hi:[1,1,0] neg_lo:[0,0,1] neg_hi:[0,0,1]
	v_pk_mul_f32 v[0:1], v[0:1], v[38:39]
	v_mov_b32_e32 v37, v5
	v_pk_mul_f32 v[4:5], v[6:7], v[32:33]
	s_nop 0
	v_pk_fma_f32 v[6:7], v[238:239], v[32:33], v[4:5] op_sel:[0,0,1] op_sel_hi:[1,1,0]
	v_pk_fma_f32 v[4:5], v[238:239], v[32:33], v[4:5] op_sel:[0,0,1] op_sel_hi:[1,1,0] neg_lo:[0,0,1] neg_hi:[0,0,1]
	s_barrier
	v_mov_b32_e32 v7, v5
	v_pk_fma_f32 v[4:5], v[144:145], v[38:39], v[0:1] op_sel:[0,0,1] op_sel_hi:[1,1,0]
	v_pk_fma_f32 v[0:1], v[144:145], v[38:39], v[0:1] op_sel:[0,0,1] op_sel_hi:[1,1,0] neg_lo:[0,0,1] neg_hi:[0,0,1]
	s_nop 0
	v_mov_b32_e32 v5, v1
	v_pk_mul_f32 v[0:1], v[2:3], v[58:59]
	ds_write2_b64 v198, v[56:57], v[80:81] offset1:65
	ds_write2_b64 v198, v[112:113], v[26:27] offset0:130 offset1:195
	v_pk_add_f32 v[26:27], v[28:29], v[36:37]
	v_pk_fma_f32 v[2:3], v[148:149], v[58:59], v[0:1] op_sel:[0,0,1] op_sel_hi:[1,1,0]
	v_pk_fma_f32 v[0:1], v[148:149], v[58:59], v[0:1] op_sel:[0,0,1] op_sel_hi:[1,1,0] neg_lo:[0,0,1] neg_hi:[0,0,1]
	v_pk_add_f32 v[26:27], v[26:27], v[6:7]
	v_mov_b32_e32 v3, v1
	v_pk_add_f32 v[26:27], v[26:27], v[4:5]
	v_pk_add_f32 v[0:1], v[6:7], v[4:5]
	;; [unrolled: 1-line block ×3, first 2 shown]
	ds_write2_b64 v121, v[30:31], v[26:27] offset0:4 offset1:69
	v_pk_add_f32 v[26:27], v[36:37], v[2:3]
	v_pk_fma_f32 v[0:1], v[0:1], 0.5, v[28:29] op_sel_hi:[1,0,1] neg_lo:[1,0,0] neg_hi:[1,0,0]
	v_pk_add_f32 v[32:33], v[36:37], v[2:3] neg_lo:[0,1] neg_hi:[0,1]
	v_pk_add_f32 v[34:35], v[6:7], v[4:5] neg_lo:[0,1] neg_hi:[0,1]
	;; [unrolled: 1-line block ×4, first 2 shown]
	v_pk_fma_f32 v[26:27], v[26:27], 0.5, v[28:29] op_sel_hi:[1,0,1] neg_lo:[1,0,0] neg_hi:[1,0,0]
	v_pk_add_f32 v[6:7], v[6:7], v[36:37] neg_lo:[0,1] neg_hi:[0,1]
	v_pk_add_f32 v[2:3], v[4:5], v[2:3] neg_lo:[0,1] neg_hi:[0,1]
	v_pk_add_f32 v[38:39], v[38:39], v[40:41]
	v_pk_fma_f32 v[40:41], v[32:33], s[8:9], v[0:1] op_sel:[1,0,0] op_sel_hi:[0,0,1]
	v_pk_fma_f32 v[0:1], v[32:33], s[8:9], v[0:1] op_sel:[1,0,0] op_sel_hi:[0,0,1] neg_lo:[1,0,0] neg_hi:[1,0,0]
	v_pk_add_f32 v[2:3], v[6:7], v[2:3]
	v_pk_fma_f32 v[4:5], v[34:35], s[8:9], v[26:27] op_sel:[1,0,0] op_sel_hi:[0,0,1] neg_lo:[1,0,0] neg_hi:[1,0,0]
	v_pk_fma_f32 v[6:7], v[34:35], s[8:9], v[26:27] op_sel:[1,0,0] op_sel_hi:[0,0,1]
	v_pk_fma_f32 v[0:1], v[34:35], s[12:13], v[0:1] op_sel:[1,0,0] op_sel_hi:[0,0,1] neg_lo:[1,0,0] neg_hi:[1,0,0]
	v_pk_fma_f32 v[40:41], v[34:35], s[12:13], v[40:41] op_sel:[1,0,0] op_sel_hi:[0,0,1]
	;; [unrolled: 2-line block ×3, first 2 shown]
	v_mov_b32_e32 v49, v1
	v_mov_b32_e32 v1, v41
	;; [unrolled: 1-line block ×7, first 2 shown]
	v_pk_fma_f32 v[0:1], v[38:39], s[0:1], v[0:1] op_sel_hi:[1,0,1]
	v_pk_fma_f32 v[26:27], v[2:3], s[0:1], v[26:27] op_sel_hi:[1,0,1]
	;; [unrolled: 1-line block ×4, first 2 shown]
	ds_write2_b64 v121, v[0:1], v[2:3] offset0:134 offset1:199
	ds_write2_b64 v118, v[26:27], v[48:49] offset0:8 offset1:73
	v_pk_add_f32 v[0:1], v[22:23], v[20:21]
	v_pk_add_f32 v[2:3], v[142:143], v[18:19] neg_lo:[0,1] neg_hi:[0,1]
	v_pk_fma_f32 v[0:1], v[0:1], 0.5, v[44:45] op_sel_hi:[1,0,1] neg_lo:[1,0,0] neg_hi:[1,0,0]
	v_pk_mul_f32 v[4:5], v[2:3], s[8:9] op_sel_hi:[1,0]
	v_pk_add_f32 v[6:7], v[22:23], v[20:21] neg_lo:[0,1] neg_hi:[0,1]
	v_pk_add_f32 v[28:29], v[142:143], v[22:23] neg_lo:[0,1] neg_hi:[0,1]
	;; [unrolled: 1-line block ×3, first 2 shown]
	v_pk_add_f32 v[16:17], v[44:45], v[142:143]
	v_pk_mul_f32 v[26:27], v[6:7], s[12:13] op_sel_hi:[1,0]
	v_pk_add_f32 v[28:29], v[28:29], v[30:31]
	v_pk_add_f32 v[30:31], v[0:1], v[4:5] op_sel:[0,1] op_sel_hi:[1,0] neg_lo:[0,1] neg_hi:[0,1]
	v_pk_add_f32 v[0:1], v[0:1], v[4:5] op_sel:[0,1] op_sel_hi:[1,0]
	v_pk_add_f32 v[16:17], v[16:17], v[22:23]
	v_pk_add_f32 v[0:1], v[0:1], v[26:27] op_sel:[0,1] op_sel_hi:[1,0]
	v_pk_add_f32 v[4:5], v[30:31], v[26:27] op_sel:[0,1] op_sel_hi:[1,0] neg_lo:[0,1] neg_hi:[0,1]
	v_pk_add_f32 v[16:17], v[16:17], v[20:21]
	v_mov_b32_e32 v26, v4
	v_mov_b32_e32 v27, v1
	v_accvgpr_read_b32 v4, a36
	v_pk_add_f32 v[16:17], v[16:17], v[18:19]
	v_pk_fma_f32 v[26:27], v[28:29], s[0:1], v[26:27] op_sel_hi:[1,0,1]
	v_add_u32_e32 v1, 0x1000, v4
	ds_write2_b64 v1, v[16:17], v[26:27] offset0:138 offset1:203
	v_pk_add_f32 v[16:17], v[142:143], v[18:19]
	v_pk_mul_f32 v[6:7], v[6:7], s[8:9] op_sel_hi:[1,0]
	v_pk_fma_f32 v[16:17], v[16:17], 0.5, v[44:45] op_sel_hi:[1,0,1] neg_lo:[1,0,0] neg_hi:[1,0,0]
	v_pk_add_f32 v[18:19], v[20:21], v[18:19] neg_lo:[0,1] neg_hi:[0,1]
	v_pk_mul_f32 v[2:3], v[2:3], s[12:13] op_sel_hi:[1,0]
	v_pk_add_f32 v[20:21], v[16:17], v[6:7] op_sel:[0,1] op_sel_hi:[1,0]
	v_pk_add_f32 v[6:7], v[16:17], v[6:7] op_sel:[0,1] op_sel_hi:[1,0] neg_lo:[0,1] neg_hi:[0,1]
	v_pk_add_f32 v[22:23], v[22:23], v[142:143] neg_lo:[0,1] neg_hi:[0,1]
	v_pk_add_f32 v[6:7], v[6:7], v[2:3] op_sel:[0,1] op_sel_hi:[1,0]
	v_pk_add_f32 v[2:3], v[20:21], v[2:3] op_sel:[0,1] op_sel_hi:[1,0] neg_lo:[0,1] neg_hi:[0,1]
	v_pk_add_f32 v[18:19], v[22:23], v[18:19]
	v_mov_b32_e32 v16, v2
	v_mov_b32_e32 v17, v7
	;; [unrolled: 1-line block ×3, first 2 shown]
	v_pk_fma_f32 v[16:17], v[18:19], s[0:1], v[16:17] op_sel_hi:[1,0,1]
	v_pk_fma_f32 v[2:3], v[18:19], s[0:1], v[6:7] op_sel_hi:[1,0,1]
	v_add_u32_e32 v1, 0x1800, v4
	ds_write2_b64 v1, v[16:17], v[2:3] offset0:12 offset1:77
	v_mov_b32_e32 v1, v5
	v_pk_fma_f32 v[0:1], v[28:29], s[0:1], v[0:1] op_sel_hi:[1,0,1]
	ds_write_b64 v4, v[0:1] offset:7280
	v_pk_add_f32 v[0:1], v[46:47], v[132:133]
	v_mov_b32_e32 v137, v139
	v_pk_add_f32 v[0:1], v[0:1], v[42:43]
	v_pk_fma_f32 v[2:3], v[134:135], s[0:1], v[136:137] op_sel_hi:[1,0,1]
	v_pk_add_f32 v[0:1], v[0:1], v[50:51]
	v_add_u32_e32 v4, 0x1c00, v15
	v_pk_add_f32 v[0:1], v[0:1], v[60:61]
	ds_write2_b64 v4, v[0:1], v[2:3] offset0:79 offset1:144
	v_pk_add_f32 v[0:1], v[132:133], v[60:61]
	v_pk_add_f32 v[2:3], v[42:43], v[132:133] neg_lo:[0,1] neg_hi:[0,1]
	v_pk_fma_f32 v[0:1], v[0:1], 0.5, v[46:47] op_sel_hi:[1,0,1] neg_lo:[1,0,0] neg_hi:[1,0,0]
	v_pk_add_f32 v[4:5], v[50:51], v[60:61] neg_lo:[0,1] neg_hi:[0,1]
	v_accvgpr_read_b32 v16, a34
	v_pk_add_f32 v[2:3], v[2:3], v[4:5]
	v_pk_fma_f32 v[4:5], v[72:73], s[8:9], v[0:1] op_sel:[1,0,0] op_sel_hi:[0,0,1] neg_lo:[1,0,0] neg_hi:[1,0,0]
	v_pk_fma_f32 v[0:1], v[72:73], s[8:9], v[0:1] op_sel:[1,0,0] op_sel_hi:[0,0,1]
	v_pk_fma_f32 v[0:1], v[54:55], s[12:13], v[0:1] op_sel:[1,0,0] op_sel_hi:[0,0,1] neg_lo:[1,0,0] neg_hi:[1,0,0]
	v_pk_fma_f32 v[4:5], v[54:55], s[12:13], v[4:5] op_sel:[1,0,0] op_sel_hi:[0,0,1]
	v_mov_b32_e32 v6, v4
	v_mov_b32_e32 v7, v1
	;; [unrolled: 1-line block ×3, first 2 shown]
	v_pk_fma_f32 v[6:7], v[2:3], s[0:1], v[6:7] op_sel_hi:[1,0,1]
	v_pk_fma_f32 v[0:1], v[2:3], s[0:1], v[0:1] op_sel_hi:[1,0,1]
	v_add_u32_e32 v2, 0x2000, v15
	ds_write2_b64 v2, v[0:1], v[6:7] offset0:81 offset1:146
	ds_write_b64 v15, v[140:141] offset:9880
	v_pk_add_f32 v[0:1], v[8:9], v[10:11]
	v_pk_fma_f32 v[2:3], v[124:125], s[0:1], v[126:127] op_sel_hi:[1,0,1]
	v_pk_add_f32 v[0:1], v[0:1], v[62:63]
	v_add_u32_e32 v15, 0x2800, v16
	v_pk_add_f32 v[0:1], v[0:1], v[82:83]
	v_pk_add_f32 v[4:5], v[82:83], v[74:75] neg_lo:[0,1] neg_hi:[0,1]
	v_pk_add_f32 v[0:1], v[0:1], v[74:75]
	ds_write2_b64 v15, v[0:1], v[2:3] offset0:20 offset1:85
	v_pk_add_f32 v[0:1], v[10:11], v[74:75]
	v_pk_add_f32 v[2:3], v[62:63], v[10:11] neg_lo:[0,1] neg_hi:[0,1]
	v_pk_fma_f32 v[0:1], v[0:1], 0.5, v[8:9] op_sel_hi:[1,0,1] neg_lo:[1,0,0] neg_hi:[1,0,0]
	v_pk_add_f32 v[2:3], v[2:3], v[4:5]
	v_pk_fma_f32 v[4:5], v[122:123], s[8:9], v[0:1] op_sel:[1,0,0] op_sel_hi:[0,0,1] neg_lo:[1,0,0] neg_hi:[1,0,0]
	v_pk_fma_f32 v[0:1], v[122:123], s[8:9], v[0:1] op_sel:[1,0,0] op_sel_hi:[0,0,1]
	v_pk_fma_f32 v[0:1], v[114:115], s[12:13], v[0:1] op_sel:[1,0,0] op_sel_hi:[0,0,1] neg_lo:[1,0,0] neg_hi:[1,0,0]
	v_pk_fma_f32 v[4:5], v[114:115], s[12:13], v[4:5] op_sel:[1,0,0] op_sel_hi:[0,0,1]
	v_mov_b32_e32 v6, v4
	v_mov_b32_e32 v7, v1
	;; [unrolled: 1-line block ×3, first 2 shown]
	v_pk_fma_f32 v[6:7], v[2:3], s[0:1], v[6:7] op_sel_hi:[1,0,1]
	v_pk_fma_f32 v[0:1], v[2:3], s[0:1], v[0:1] op_sel_hi:[1,0,1]
	ds_write2_b64 v15, v[0:1], v[6:7] offset0:150 offset1:215
	ds_write_b64 v16, v[130:131] offset:12480
	s_waitcnt lgkmcnt(0)
	s_barrier
	ds_read2_b64 v[0:3], v121 offset0:4 offset1:69
	ds_read2_b64 v[4:7], v198 offset1:65
	ds_read2_b64 v[8:11], v118 offset0:138 offset1:203
	ds_read2_b64 v[16:19], v119 offset0:142 offset1:207
	;; [unrolled: 1-line block ×3, first 2 shown]
	v_accvgpr_read_b32 v28, a86
	s_waitcnt lgkmcnt(4)
	v_pk_mul_f32 v[26:27], v[108:109], v[2:3]
	v_accvgpr_read_b32 v29, a87
	v_pk_fma_f32 v[38:39], v[28:29], v[2:3], v[26:27] op_sel:[0,0,1] op_sel_hi:[1,1,0]
	v_pk_fma_f32 v[2:3], v[28:29], v[2:3], v[26:27] op_sel:[0,0,1] op_sel_hi:[1,1,0] neg_lo:[0,0,1] neg_hi:[0,0,1]
	ds_read2_b64 v[26:29], v116 offset0:16 offset1:81
	v_mov_b32_e32 v39, v3
	s_waitcnt lgkmcnt(3)
	v_pk_mul_f32 v[2:3], v[110:111], v[8:9]
	v_accvgpr_read_b32 v25, a23
	v_pk_fma_f32 v[40:41], v[214:215], v[8:9], v[2:3] op_sel:[0,0,1] op_sel_hi:[1,1,0]
	v_pk_fma_f32 v[2:3], v[214:215], v[8:9], v[2:3] op_sel:[0,0,1] op_sel_hi:[1,1,0] neg_lo:[0,0,1] neg_hi:[0,0,1]
	v_accvgpr_read_b32 v8, a88
	v_mov_b32_e32 v41, v3
	s_waitcnt lgkmcnt(2)
	v_pk_mul_f32 v[2:3], v[104:105], v[18:19]
	v_accvgpr_read_b32 v9, a89
	v_pk_fma_f32 v[42:43], v[8:9], v[18:19], v[2:3] op_sel:[0,0,1] op_sel_hi:[1,1,0]
	v_pk_fma_f32 v[2:3], v[8:9], v[18:19], v[2:3] op_sel:[0,0,1] op_sel_hi:[1,1,0] neg_lo:[0,0,1] neg_hi:[0,0,1]
	v_pk_add_f32 v[74:75], v[38:39], v[40:41] neg_lo:[0,1] neg_hi:[0,1]
	v_mov_b32_e32 v43, v3
	s_waitcnt lgkmcnt(1)
	v_pk_mul_f32 v[2:3], v[106:107], v[20:21]
	v_add_u32_e32 v15, 0x800, v25
	v_pk_fma_f32 v[44:45], v[212:213], v[20:21], v[2:3] op_sel:[0,0,1] op_sel_hi:[1,1,0]
	v_pk_fma_f32 v[2:3], v[212:213], v[20:21], v[2:3] op_sel:[0,0,1] op_sel_hi:[1,1,0] neg_lo:[0,0,1] neg_hi:[0,0,1]
	ds_read2_b64 v[18:21], v121 offset0:134 offset1:199
	v_mov_b32_e32 v45, v3
	v_pk_add_f32 v[2:3], v[4:5], v[38:39]
	s_waitcnt lgkmcnt(0)
	v_pk_mul_f32 v[8:9], v[100:101], v[18:19]
	s_nop 0
	v_pk_fma_f32 v[46:47], v[222:223], v[18:19], v[8:9] op_sel:[0,0,1] op_sel_hi:[1,1,0]
	v_pk_fma_f32 v[8:9], v[222:223], v[18:19], v[8:9] op_sel:[0,0,1] op_sel_hi:[1,1,0] neg_lo:[0,0,1] neg_hi:[0,0,1]
	v_pk_mul_f32 v[18:19], v[92:93], v[20:21]
	v_mov_b32_e32 v47, v9
	v_pk_mul_f32 v[8:9], v[102:103], v[10:11]
	v_pk_fma_f32 v[54:55], v[210:211], v[20:21], v[18:19] op_sel:[0,0,1] op_sel_hi:[1,1,0]
	v_pk_fma_f32 v[48:49], v[224:225], v[10:11], v[8:9] op_sel:[0,0,1] op_sel_hi:[1,1,0]
	v_pk_fma_f32 v[8:9], v[224:225], v[10:11], v[8:9] op_sel:[0,0,1] op_sel_hi:[1,1,0] neg_lo:[0,0,1] neg_hi:[0,0,1]
	v_pk_fma_f32 v[18:19], v[210:211], v[20:21], v[18:19] op_sel:[0,0,1] op_sel_hi:[1,1,0] neg_lo:[0,0,1] neg_hi:[0,0,1]
	v_mov_b32_e32 v49, v9
	v_pk_mul_f32 v[8:9], v[96:97], v[26:27]
	v_mov_b32_e32 v55, v19
	v_pk_fma_f32 v[50:51], v[228:229], v[26:27], v[8:9] op_sel:[0,0,1] op_sel_hi:[1,1,0]
	v_pk_fma_f32 v[8:9], v[228:229], v[26:27], v[8:9] op_sel:[0,0,1] op_sel_hi:[1,1,0] neg_lo:[0,0,1] neg_hi:[0,0,1]
	v_pk_add_f32 v[2:3], v[2:3], v[40:41]
	v_mov_b32_e32 v51, v9
	v_pk_mul_f32 v[8:9], v[98:99], v[22:23]
	v_pk_add_f32 v[2:3], v[2:3], v[42:43]
	v_pk_fma_f32 v[52:53], v[230:231], v[22:23], v[8:9] op_sel:[0,0,1] op_sel_hi:[1,1,0]
	v_pk_fma_f32 v[8:9], v[230:231], v[22:23], v[8:9] op_sel:[0,0,1] op_sel_hi:[1,1,0] neg_lo:[0,0,1] neg_hi:[0,0,1]
	v_pk_add_f32 v[2:3], v[2:3], v[44:45]
	v_mov_b32_e32 v53, v9
	v_pk_add_f32 v[8:9], v[6:7], v[46:47]
	s_nop 0
	v_pk_add_f32 v[8:9], v[8:9], v[48:49]
	s_nop 0
	;; [unrolled: 2-line block ×3, first 2 shown]
	v_pk_add_f32 v[22:23], v[8:9], v[52:53]
	ds_read2_b64 v[8:11], v198 offset0:130 offset1:195
	ds_read2_b64 v[30:33], v119 offset0:12 offset1:77
	ds_read2_b64 v[34:37], v120 offset0:150 offset1:215
	ds_write_b64 v198, v[2:3]
	ds_read_b64 v[2:3], v198 offset:12480
	s_waitcnt lgkmcnt(4)
	v_pk_add_f32 v[26:27], v[8:9], v[54:55]
	s_waitcnt lgkmcnt(3)
	v_pk_mul_f32 v[18:19], v[94:95], v[30:31]
	s_nop 0
	v_pk_fma_f32 v[56:57], v[234:235], v[30:31], v[18:19] op_sel:[0,0,1] op_sel_hi:[1,1,0]
	v_pk_fma_f32 v[18:19], v[234:235], v[30:31], v[18:19] op_sel:[0,0,1] op_sel_hi:[1,1,0] neg_lo:[0,0,1] neg_hi:[0,0,1]
	s_nop 0
	v_mov_b32_e32 v57, v19
	v_pk_mul_f32 v[18:19], v[88:89], v[28:29]
	v_pk_add_f32 v[26:27], v[26:27], v[56:57]
	v_pk_fma_f32 v[30:31], v[232:233], v[28:29], v[18:19] op_sel:[0,0,1] op_sel_hi:[1,1,0]
	v_pk_fma_f32 v[18:19], v[232:233], v[28:29], v[18:19] op_sel:[0,0,1] op_sel_hi:[1,1,0] neg_lo:[0,0,1] neg_hi:[0,0,1]
	s_nop 0
	v_mov_b32_e32 v31, v19
	s_waitcnt lgkmcnt(2)
	v_pk_mul_f32 v[18:19], v[90:91], v[34:35]
	v_pk_add_f32 v[26:27], v[26:27], v[30:31]
	v_pk_fma_f32 v[58:59], v[240:241], v[34:35], v[18:19] op_sel:[0,0,1] op_sel_hi:[1,1,0]
	v_pk_fma_f32 v[18:19], v[240:241], v[34:35], v[18:19] op_sel:[0,0,1] op_sel_hi:[1,1,0] neg_lo:[0,0,1] neg_hi:[0,0,1]
	s_nop 0
	v_mov_b32_e32 v59, v19
	ds_read2_b64 v[18:21], v118 offset0:8 offset1:73
	v_pk_add_f32 v[34:35], v[26:27], v[58:59]
	ds_read2_b64 v[26:29], v116 offset0:146 offset1:211
	s_waitcnt lgkmcnt(1)
	v_pk_mul_f32 v[60:61], v[84:85], v[18:19]
	s_nop 0
	v_pk_fma_f32 v[62:63], v[208:209], v[18:19], v[60:61] op_sel:[0,0,1] op_sel_hi:[1,1,0]
	v_pk_fma_f32 v[18:19], v[208:209], v[18:19], v[60:61] op_sel:[0,0,1] op_sel_hi:[1,1,0] neg_lo:[0,0,1] neg_hi:[0,0,1]
	s_nop 0
	v_mov_b32_e32 v63, v19
	v_pk_mul_f32 v[18:19], v[86:87], v[32:33]
	s_nop 0
	v_pk_fma_f32 v[60:61], v[216:217], v[32:33], v[18:19] op_sel:[0,0,1] op_sel_hi:[1,1,0]
	v_pk_fma_f32 v[18:19], v[216:217], v[32:33], v[18:19] op_sel:[0,0,1] op_sel_hi:[1,1,0] neg_lo:[0,0,1] neg_hi:[0,0,1]
	s_nop 0
	v_mov_b32_e32 v61, v19
	s_waitcnt lgkmcnt(0)
	v_pk_mul_f32 v[18:19], v[76:77], v[26:27]
	v_pk_add_f32 v[76:77], v[44:45], v[42:43] neg_lo:[0,1] neg_hi:[0,1]
	v_pk_fma_f32 v[32:33], v[218:219], v[26:27], v[18:19] op_sel:[0,0,1] op_sel_hi:[1,1,0]
	v_pk_fma_f32 v[18:19], v[218:219], v[26:27], v[18:19] op_sel:[0,0,1] op_sel_hi:[1,1,0] neg_lo:[0,0,1] neg_hi:[0,0,1]
	v_pk_add_f32 v[74:75], v[74:75], v[76:77]
	v_mov_b32_e32 v33, v19
	v_pk_mul_f32 v[18:19], v[78:79], v[36:37]
	s_nop 0
	v_pk_fma_f32 v[26:27], v[220:221], v[36:37], v[18:19] op_sel:[0,0,1] op_sel_hi:[1,1,0]
	v_pk_fma_f32 v[18:19], v[220:221], v[36:37], v[18:19] op_sel:[0,0,1] op_sel_hi:[1,1,0] neg_lo:[0,0,1] neg_hi:[0,0,1]
	v_pk_mul_f32 v[36:37], v[68:69], v[20:21]
	v_mov_b32_e32 v27, v19
	v_pk_fma_f32 v[68:69], v[196:197], v[20:21], v[36:37] op_sel:[0,0,1] op_sel_hi:[1,1,0]
	v_pk_fma_f32 v[20:21], v[196:197], v[20:21], v[36:37] op_sel:[0,0,1] op_sel_hi:[1,1,0] neg_lo:[0,0,1] neg_hi:[0,0,1]
	v_pk_add_f32 v[18:19], v[10:11], v[62:63]
	v_mov_b32_e32 v69, v21
	v_pk_mul_f32 v[20:21], v[70:71], v[16:17]
	v_pk_add_f32 v[70:71], v[40:41], v[42:43] neg_lo:[0,1] neg_hi:[0,1]
	v_pk_fma_f32 v[36:37], v[200:201], v[16:17], v[20:21] op_sel:[0,0,1] op_sel_hi:[1,1,0]
	v_pk_fma_f32 v[16:17], v[200:201], v[16:17], v[20:21] op_sel:[0,0,1] op_sel_hi:[1,1,0] neg_lo:[0,0,1] neg_hi:[0,0,1]
	v_pk_mul_f32 v[72:73], v[70:71], s[12:13] op_sel_hi:[1,0]
	v_mov_b32_e32 v37, v17
	v_pk_mul_f32 v[16:17], v[64:65], v[28:29]
	v_pk_add_f32 v[64:65], v[38:39], v[44:45] neg_lo:[0,1] neg_hi:[0,1]
	v_pk_fma_f32 v[20:21], v[204:205], v[28:29], v[16:17] op_sel:[0,0,1] op_sel_hi:[1,1,0]
	v_pk_fma_f32 v[16:17], v[204:205], v[28:29], v[16:17] op_sel:[0,0,1] op_sel_hi:[1,1,0] neg_lo:[0,0,1] neg_hi:[0,0,1]
	v_pk_add_f32 v[18:19], v[18:19], v[60:61]
	v_mov_b32_e32 v21, v17
	v_pk_mul_f32 v[16:17], v[66:67], v[2:3]
	v_pk_mul_f32 v[66:67], v[64:65], s[8:9] op_sel_hi:[1,0]
	v_pk_fma_f32 v[28:29], v[206:207], v[2:3], v[16:17] op_sel:[0,0,1] op_sel_hi:[1,1,0]
	v_pk_fma_f32 v[2:3], v[206:207], v[2:3], v[16:17] op_sel:[0,0,1] op_sel_hi:[1,1,0] neg_lo:[0,0,1] neg_hi:[0,0,1]
	v_pk_add_f32 v[16:17], v[40:41], v[42:43]
	v_pk_add_f32 v[18:19], v[18:19], v[32:33]
	v_pk_fma_f32 v[16:17], v[16:17], 0.5, v[4:5] op_sel_hi:[1,0,1] neg_lo:[1,0,0] neg_hi:[1,0,0]
	v_pk_add_f32 v[18:19], v[18:19], v[26:27]
	v_pk_add_f32 v[76:77], v[16:17], v[66:67] op_sel:[0,1] op_sel_hi:[1,0] neg_lo:[0,1] neg_hi:[0,1]
	v_pk_add_f32 v[16:17], v[16:17], v[66:67] op_sel:[0,1] op_sel_hi:[1,0]
	v_pk_add_f32 v[66:67], v[76:77], v[72:73] op_sel:[0,1] op_sel_hi:[1,0] neg_lo:[0,1] neg_hi:[0,1]
	v_pk_add_f32 v[76:77], v[38:39], v[44:45]
	v_pk_add_f32 v[38:39], v[40:41], v[38:39] neg_lo:[0,1] neg_hi:[0,1]
	v_pk_add_f32 v[40:41], v[42:43], v[44:45] neg_lo:[0,1] neg_hi:[0,1]
	v_pk_fma_f32 v[4:5], v[76:77], 0.5, v[4:5] op_sel_hi:[1,0,1] neg_lo:[1,0,0] neg_hi:[1,0,0]
	v_pk_add_f32 v[38:39], v[38:39], v[40:41]
	v_pk_mul_f32 v[40:41], v[70:71], s[8:9] op_sel_hi:[1,0]
	v_pk_mul_f32 v[42:43], v[64:65], s[12:13] op_sel_hi:[1,0]
	v_pk_add_f32 v[44:45], v[4:5], v[40:41] op_sel:[0,1] op_sel_hi:[1,0]
	v_pk_add_f32 v[4:5], v[4:5], v[40:41] op_sel:[0,1] op_sel_hi:[1,0] neg_lo:[0,1] neg_hi:[0,1]
	v_pk_add_f32 v[40:41], v[44:45], v[42:43] op_sel:[0,1] op_sel_hi:[1,0] neg_lo:[0,1] neg_hi:[0,1]
	v_pk_add_f32 v[4:5], v[4:5], v[42:43] op_sel:[0,1] op_sel_hi:[1,0]
	v_pk_add_f32 v[16:17], v[16:17], v[72:73] op_sel:[0,1] op_sel_hi:[1,0]
	v_mov_b32_e32 v42, v40
	v_mov_b32_e32 v43, v5
	;; [unrolled: 1-line block ×5, first 2 shown]
	v_pk_fma_f32 v[42:43], v[38:39], s[0:1], v[42:43] op_sel_hi:[1,0,1]
	v_pk_fma_f32 v[4:5], v[38:39], s[0:1], v[4:5] op_sel_hi:[1,0,1]
	v_mov_b32_e32 v17, v67
	v_pk_add_f32 v[38:39], v[48:49], v[50:51]
	v_pk_add_f32 v[40:41], v[46:47], v[52:53] neg_lo:[0,1] neg_hi:[0,1]
	v_pk_fma_f32 v[72:73], v[74:75], s[0:1], v[72:73] op_sel_hi:[1,0,1]
	v_pk_fma_f32 v[16:17], v[74:75], s[0:1], v[16:17] op_sel_hi:[1,0,1]
	v_pk_fma_f32 v[38:39], v[38:39], 0.5, v[6:7] op_sel_hi:[1,0,1] neg_lo:[1,0,0] neg_hi:[1,0,0]
	v_pk_mul_f32 v[44:45], v[40:41], s[8:9] op_sel_hi:[1,0]
	v_pk_add_f32 v[64:65], v[48:49], v[50:51] neg_lo:[0,1] neg_hi:[0,1]
	v_pk_add_f32 v[70:71], v[46:47], v[48:49] neg_lo:[0,1] neg_hi:[0,1]
	;; [unrolled: 1-line block ×3, first 2 shown]
	v_pk_mul_f32 v[66:67], v[64:65], s[12:13] op_sel_hi:[1,0]
	v_pk_add_f32 v[70:71], v[70:71], v[74:75]
	v_pk_add_f32 v[74:75], v[38:39], v[44:45] op_sel:[0,1] op_sel_hi:[1,0] neg_lo:[0,1] neg_hi:[0,1]
	v_pk_add_f32 v[38:39], v[38:39], v[44:45] op_sel:[0,1] op_sel_hi:[1,0]
	v_pk_add_f32 v[44:45], v[74:75], v[66:67] op_sel:[0,1] op_sel_hi:[1,0] neg_lo:[0,1] neg_hi:[0,1]
	v_pk_add_f32 v[38:39], v[38:39], v[66:67] op_sel:[0,1] op_sel_hi:[1,0]
	v_mov_b32_e32 v66, v44
	v_mov_b32_e32 v67, v39
	v_pk_fma_f32 v[66:67], v[70:71], s[0:1], v[66:67] op_sel_hi:[1,0,1]
	ds_write2_b64 v15, v[72:73], v[66:67] offset0:69 offset1:134
	v_pk_add_f32 v[66:67], v[46:47], v[52:53]
	v_pk_add_f32 v[46:47], v[48:49], v[46:47] neg_lo:[0,1] neg_hi:[0,1]
	v_pk_add_f32 v[48:49], v[50:51], v[52:53] neg_lo:[0,1] neg_hi:[0,1]
	v_pk_fma_f32 v[6:7], v[66:67], 0.5, v[6:7] op_sel_hi:[1,0,1] neg_lo:[1,0,0] neg_hi:[1,0,0]
	v_pk_add_f32 v[46:47], v[46:47], v[48:49]
	v_pk_mul_f32 v[48:49], v[64:65], s[8:9] op_sel_hi:[1,0]
	v_pk_mul_f32 v[40:41], v[40:41], s[12:13] op_sel_hi:[1,0]
	v_pk_add_f32 v[50:51], v[6:7], v[48:49] op_sel:[0,1] op_sel_hi:[1,0]
	v_pk_add_f32 v[6:7], v[6:7], v[48:49] op_sel:[0,1] op_sel_hi:[1,0] neg_lo:[0,1] neg_hi:[0,1]
	v_add_u32_e32 v15, 0x1c00, v25
	v_pk_add_f32 v[6:7], v[6:7], v[40:41] op_sel:[0,1] op_sel_hi:[1,0]
	v_pk_add_f32 v[40:41], v[50:51], v[40:41] op_sel:[0,1] op_sel_hi:[1,0] neg_lo:[0,1] neg_hi:[0,1]
	v_mov_b32_e32 v49, v7
	v_mov_b32_e32 v48, v40
	v_pk_fma_f32 v[48:49], v[46:47], s[0:1], v[48:49] op_sel_hi:[1,0,1]
	v_add_u32_e32 v7, 0x1000, v25
	ds_write2_b64 v7, v[42:43], v[48:49] offset0:138 offset1:203
	v_mov_b32_e32 v7, v41
	v_pk_fma_f32 v[6:7], v[46:47], s[0:1], v[6:7] op_sel_hi:[1,0,1]
	v_mov_b32_e32 v39, v45
	ds_write2_b64 v15, v[4:5], v[6:7] offset0:79 offset1:144
	v_pk_fma_f32 v[4:5], v[70:71], s[0:1], v[38:39] op_sel_hi:[1,0,1]
	v_add_u32_e32 v6, 0x2800, v25
	ds_write2_b64 v6, v[16:17], v[4:5] offset0:20 offset1:85
	ds_write2_b64 v25, v[22:23], v[34:35] offset0:65 offset1:130
	v_pk_add_f32 v[4:5], v[56:57], v[30:31]
	v_pk_add_f32 v[6:7], v[54:55], v[58:59] neg_lo:[0,1] neg_hi:[0,1]
	v_pk_fma_f32 v[4:5], v[4:5], 0.5, v[8:9] op_sel_hi:[1,0,1] neg_lo:[1,0,0] neg_hi:[1,0,0]
	v_pk_mul_f32 v[16:17], v[6:7], s[8:9] op_sel_hi:[1,0]
	v_pk_add_f32 v[22:23], v[56:57], v[30:31] neg_lo:[0,1] neg_hi:[0,1]
	v_pk_add_f32 v[38:39], v[54:55], v[56:57] neg_lo:[0,1] neg_hi:[0,1]
	;; [unrolled: 1-line block ×3, first 2 shown]
	v_pk_mul_f32 v[34:35], v[22:23], s[12:13] op_sel_hi:[1,0]
	v_pk_add_f32 v[38:39], v[38:39], v[40:41]
	v_pk_add_f32 v[40:41], v[4:5], v[16:17] op_sel:[0,1] op_sel_hi:[1,0] neg_lo:[0,1] neg_hi:[0,1]
	v_pk_add_f32 v[4:5], v[4:5], v[16:17] op_sel:[0,1] op_sel_hi:[1,0]
	v_pk_add_f32 v[16:17], v[40:41], v[34:35] op_sel:[0,1] op_sel_hi:[1,0] neg_lo:[0,1] neg_hi:[0,1]
	v_pk_add_f32 v[4:5], v[4:5], v[34:35] op_sel:[0,1] op_sel_hi:[1,0]
	v_mov_b32_e32 v34, v16
	v_mov_b32_e32 v35, v5
	v_pk_fma_f32 v[34:35], v[38:39], s[0:1], v[34:35] op_sel_hi:[1,0,1]
	ds_write_b64 v202, v[34:35] offset:2600
	v_pk_add_f32 v[34:35], v[54:55], v[58:59]
	v_pk_add_f32 v[30:31], v[30:31], v[58:59] neg_lo:[0,1] neg_hi:[0,1]
	v_pk_fma_f32 v[8:9], v[34:35], 0.5, v[8:9] op_sel_hi:[1,0,1] neg_lo:[1,0,0] neg_hi:[1,0,0]
	v_pk_add_f32 v[34:35], v[56:57], v[54:55] neg_lo:[0,1] neg_hi:[0,1]
	v_pk_mul_f32 v[22:23], v[22:23], s[8:9] op_sel_hi:[1,0]
	v_pk_add_f32 v[30:31], v[34:35], v[30:31]
	v_pk_mul_f32 v[6:7], v[6:7], s[12:13] op_sel_hi:[1,0]
	v_pk_add_f32 v[34:35], v[8:9], v[22:23] op_sel:[0,1] op_sel_hi:[1,0]
	v_pk_add_f32 v[8:9], v[8:9], v[22:23] op_sel:[0,1] op_sel_hi:[1,0] neg_lo:[0,1] neg_hi:[0,1]
	v_mov_b32_e32 v5, v17
	v_pk_add_f32 v[8:9], v[8:9], v[6:7] op_sel:[0,1] op_sel_hi:[1,0]
	v_pk_add_f32 v[6:7], v[34:35], v[6:7] op_sel:[0,1] op_sel_hi:[1,0] neg_lo:[0,1] neg_hi:[0,1]
	v_mov_b32_e32 v23, v9
	v_mov_b32_e32 v22, v6
	;; [unrolled: 1-line block ×3, first 2 shown]
	v_pk_fma_f32 v[22:23], v[30:31], s[0:1], v[22:23] op_sel_hi:[1,0,1]
	v_pk_fma_f32 v[6:7], v[30:31], s[0:1], v[8:9] op_sel_hi:[1,0,1]
	;; [unrolled: 1-line block ×3, first 2 shown]
	ds_write_b64 v202, v[22:23] offset:5200
	ds_write_b64 v202, v[6:7] offset:7800
	ds_write_b64 v202, v[4:5] offset:10400
	ds_write_b64 v25, v[18:19] offset:1560
	v_pk_add_f32 v[4:5], v[60:61], v[32:33]
	v_pk_add_f32 v[6:7], v[62:63], v[26:27] neg_lo:[0,1] neg_hi:[0,1]
	v_pk_fma_f32 v[4:5], v[4:5], 0.5, v[10:11] op_sel_hi:[1,0,1] neg_lo:[1,0,0] neg_hi:[1,0,0]
	v_pk_mul_f32 v[8:9], v[6:7], s[8:9] op_sel_hi:[1,0]
	v_pk_add_f32 v[16:17], v[60:61], v[32:33] neg_lo:[0,1] neg_hi:[0,1]
	v_pk_add_f32 v[22:23], v[62:63], v[60:61] neg_lo:[0,1] neg_hi:[0,1]
	;; [unrolled: 1-line block ×3, first 2 shown]
	v_pk_mul_f32 v[18:19], v[16:17], s[12:13] op_sel_hi:[1,0]
	v_pk_add_f32 v[22:23], v[22:23], v[30:31]
	v_pk_add_f32 v[30:31], v[4:5], v[8:9] op_sel:[0,1] op_sel_hi:[1,0] neg_lo:[0,1] neg_hi:[0,1]
	v_pk_add_f32 v[4:5], v[4:5], v[8:9] op_sel:[0,1] op_sel_hi:[1,0]
	v_pk_add_f32 v[8:9], v[30:31], v[18:19] op_sel:[0,1] op_sel_hi:[1,0] neg_lo:[0,1] neg_hi:[0,1]
	v_pk_add_f32 v[4:5], v[4:5], v[18:19] op_sel:[0,1] op_sel_hi:[1,0]
	v_mov_b32_e32 v18, v8
	v_mov_b32_e32 v19, v5
	v_pk_fma_f32 v[18:19], v[22:23], s[0:1], v[18:19] op_sel_hi:[1,0,1]
	ds_write_b64 v195, v[18:19] offset:2600
	v_pk_add_f32 v[18:19], v[62:63], v[26:27]
	v_pk_add_f32 v[26:27], v[32:33], v[26:27] neg_lo:[0,1] neg_hi:[0,1]
	v_pk_fma_f32 v[10:11], v[18:19], 0.5, v[10:11] op_sel_hi:[1,0,1] neg_lo:[1,0,0] neg_hi:[1,0,0]
	v_pk_add_f32 v[18:19], v[60:61], v[62:63] neg_lo:[0,1] neg_hi:[0,1]
	v_pk_mul_f32 v[16:17], v[16:17], s[8:9] op_sel_hi:[1,0]
	v_mov_b32_e32 v29, v3
	v_pk_add_f32 v[2:3], v[0:1], v[68:69]
	v_pk_add_f32 v[18:19], v[18:19], v[26:27]
	v_pk_mul_f32 v[6:7], v[6:7], s[12:13] op_sel_hi:[1,0]
	v_pk_add_f32 v[26:27], v[10:11], v[16:17] op_sel:[0,1] op_sel_hi:[1,0]
	v_pk_add_f32 v[10:11], v[10:11], v[16:17] op_sel:[0,1] op_sel_hi:[1,0] neg_lo:[0,1] neg_hi:[0,1]
	v_pk_add_f32 v[2:3], v[2:3], v[36:37]
	v_pk_add_f32 v[10:11], v[10:11], v[6:7] op_sel:[0,1] op_sel_hi:[1,0]
	v_pk_add_f32 v[6:7], v[26:27], v[6:7] op_sel:[0,1] op_sel_hi:[1,0] neg_lo:[0,1] neg_hi:[0,1]
	v_pk_add_f32 v[2:3], v[2:3], v[20:21]
	v_mov_b32_e32 v16, v6
	v_mov_b32_e32 v17, v11
	;; [unrolled: 1-line block ×4, first 2 shown]
	v_pk_add_f32 v[2:3], v[2:3], v[28:29]
	v_pk_fma_f32 v[16:17], v[18:19], s[0:1], v[16:17] op_sel_hi:[1,0,1]
	v_pk_fma_f32 v[6:7], v[18:19], s[0:1], v[10:11] op_sel_hi:[1,0,1]
	;; [unrolled: 1-line block ×3, first 2 shown]
	ds_write_b64 v195, v[16:17] offset:5200
	ds_write_b64 v195, v[6:7] offset:7800
	;; [unrolled: 1-line block ×4, first 2 shown]
	v_pk_add_f32 v[2:3], v[36:37], v[20:21]
	v_pk_add_f32 v[4:5], v[68:69], v[28:29] neg_lo:[0,1] neg_hi:[0,1]
	v_pk_fma_f32 v[2:3], v[2:3], 0.5, v[0:1] op_sel_hi:[1,0,1] neg_lo:[1,0,0] neg_hi:[1,0,0]
	v_pk_mul_f32 v[6:7], v[4:5], s[8:9] op_sel_hi:[1,0]
	v_pk_add_f32 v[8:9], v[36:37], v[20:21] neg_lo:[0,1] neg_hi:[0,1]
	v_pk_add_f32 v[16:17], v[68:69], v[36:37] neg_lo:[0,1] neg_hi:[0,1]
	;; [unrolled: 1-line block ×3, first 2 shown]
	v_pk_mul_f32 v[10:11], v[8:9], s[12:13] op_sel_hi:[1,0]
	v_pk_add_f32 v[16:17], v[16:17], v[18:19]
	v_pk_add_f32 v[18:19], v[2:3], v[6:7] op_sel:[0,1] op_sel_hi:[1,0] neg_lo:[0,1] neg_hi:[0,1]
	v_pk_add_f32 v[2:3], v[2:3], v[6:7] op_sel:[0,1] op_sel_hi:[1,0]
	v_pk_add_f32 v[6:7], v[18:19], v[10:11] op_sel:[0,1] op_sel_hi:[1,0] neg_lo:[0,1] neg_hi:[0,1]
	v_pk_add_f32 v[2:3], v[2:3], v[10:11] op_sel:[0,1] op_sel_hi:[1,0]
	v_mov_b32_e32 v10, v6
	v_mov_b32_e32 v11, v3
	v_pk_fma_f32 v[10:11], v[16:17], s[0:1], v[10:11] op_sel_hi:[1,0,1]
	ds_write_b64 v194, v[10:11] offset:2600
	v_pk_add_f32 v[10:11], v[68:69], v[28:29]
	v_pk_add_f32 v[18:19], v[20:21], v[28:29] neg_lo:[0,1] neg_hi:[0,1]
	v_pk_fma_f32 v[0:1], v[10:11], 0.5, v[0:1] op_sel_hi:[1,0,1] neg_lo:[1,0,0] neg_hi:[1,0,0]
	v_pk_add_f32 v[10:11], v[36:37], v[68:69] neg_lo:[0,1] neg_hi:[0,1]
	v_pk_mul_f32 v[8:9], v[8:9], s[8:9] op_sel_hi:[1,0]
	v_pk_add_f32 v[10:11], v[10:11], v[18:19]
	v_pk_mul_f32 v[4:5], v[4:5], s[12:13] op_sel_hi:[1,0]
	v_pk_add_f32 v[18:19], v[0:1], v[8:9] op_sel:[0,1] op_sel_hi:[1,0]
	v_pk_add_f32 v[0:1], v[0:1], v[8:9] op_sel:[0,1] op_sel_hi:[1,0] neg_lo:[0,1] neg_hi:[0,1]
	v_mov_b32_e32 v3, v7
	v_pk_add_f32 v[0:1], v[0:1], v[4:5] op_sel:[0,1] op_sel_hi:[1,0]
	v_pk_add_f32 v[4:5], v[18:19], v[4:5] op_sel:[0,1] op_sel_hi:[1,0] neg_lo:[0,1] neg_hi:[0,1]
	v_mov_b32_e32 v9, v1
	v_mov_b32_e32 v1, v5
	;; [unrolled: 1-line block ×3, first 2 shown]
	v_pk_fma_f32 v[0:1], v[10:11], s[0:1], v[0:1] op_sel_hi:[1,0,1]
	v_pk_fma_f32 v[8:9], v[10:11], s[0:1], v[8:9] op_sel_hi:[1,0,1]
	ds_write_b64 v194, v[0:1] offset:7800
	v_pk_fma_f32 v[0:1], v[16:17], s[0:1], v[2:3] op_sel_hi:[1,0,1]
	ds_write_b64 v194, v[8:9] offset:5200
	ds_write_b64 v194, v[0:1] offset:10400
	s_waitcnt lgkmcnt(0)
	s_barrier
	ds_read2_b64 v[0:3], v198 offset1:125
	v_accvgpr_read_b32 v6, a30
	v_mad_u64_u32 v[4:5], s[0:1], s7, v146, v[24:25]
	v_accvgpr_read_b32 v7, a31
	v_mov_b32_e32 v15, v4
	s_waitcnt lgkmcnt(0)
	v_mul_f32_e32 v4, v7, v1
	v_fmac_f32_e32 v4, v6, v0
	v_mul_f32_e32 v0, v7, v0
	s_mov_b32 s0, 0x6615bd85
	v_fma_f32 v0, v6, v1, -v0
	v_cvt_f64_f32_e32 v[4:5], v4
	s_mov_b32 s1, 0x3f442a38
	v_cvt_f64_f32_e32 v[0:1], v0
	v_mul_f64 v[4:5], v[4:5], s[0:1]
	v_mul_f64 v[0:1], v[0:1], s[0:1]
	v_cvt_f32_f64_e32 v4, v[4:5]
	v_cvt_f32_f64_e32 v5, v[0:1]
	v_mad_u64_u32 v[0:1], s[6:7], s4, v226, 0
	v_mov_b32_e32 v6, v1
	v_mad_u64_u32 v[6:7], s[6:7], s5, v226, v[6:7]
	v_mov_b32_e32 v1, v6
	v_lshl_add_u64 v[6:7], v[14:15], 3, v[12:13]
	v_lshl_add_u64 v[8:9], v[0:1], 3, v[6:7]
	v_accvgpr_read_b32 v6, a28
	v_accvgpr_read_b32 v7, a29
	v_mul_f32_e32 v0, v7, v3
	v_fmac_f32_e32 v0, v6, v2
	v_cvt_f64_f32_e32 v[0:1], v0
	v_mul_f64 v[0:1], v[0:1], s[0:1]
	global_store_dwordx2 v[8:9], v[4:5], off
	v_cvt_f32_f64_e32 v4, v[0:1]
	v_mul_f32_e32 v0, v7, v2
	v_fma_f32 v0, v6, v3, -v0
	v_cvt_f64_f32_e32 v[0:1], v0
	v_mul_f64 v[0:1], v[0:1], s[0:1]
	v_add_u32_e32 v6, 0x400, v198
	v_cvt_f32_f64_e32 v5, v[0:1]
	ds_read2_b64 v[0:3], v6 offset0:122 offset1:247
	s_mul_i32 s6, s5, 0x7d
	s_mul_hi_u32 s7, s4, 0x7d
	s_add_i32 s7, s7, s6
	s_mul_i32 s6, s4, 0x7d
	s_lshl_b64 s[6:7], s[6:7], 3
	v_accvgpr_read_b32 v10, a26
	v_lshl_add_u64 v[8:9], v[8:9], 0, s[6:7]
	v_accvgpr_read_b32 v11, a27
	global_store_dwordx2 v[8:9], v[4:5], off
	s_waitcnt lgkmcnt(0)
	v_mul_f32_e32 v4, v11, v1
	v_fmac_f32_e32 v4, v10, v0
	v_mul_f32_e32 v0, v11, v0
	v_fma_f32 v0, v10, v1, -v0
	v_cvt_f64_f32_e32 v[4:5], v4
	v_cvt_f64_f32_e32 v[0:1], v0
	v_mul_f64 v[4:5], v[4:5], s[0:1]
	v_mul_f64 v[0:1], v[0:1], s[0:1]
	v_cvt_f32_f64_e32 v4, v[4:5]
	v_cvt_f32_f64_e32 v5, v[0:1]
	v_lshl_add_u64 v[8:9], v[8:9], 0, s[6:7]
	global_store_dwordx2 v[8:9], v[4:5], off
	v_accvgpr_read_b32 v4, a24
	v_accvgpr_read_b32 v5, a25
	v_mul_f32_e32 v0, v5, v3
	v_fmac_f32_e32 v0, v4, v2
	v_cvt_f64_f32_e32 v[0:1], v0
	v_mul_f64 v[0:1], v[0:1], s[0:1]
	v_cvt_f32_f64_e32 v10, v[0:1]
	v_mul_f32_e32 v0, v5, v2
	v_fma_f32 v0, v4, v3, -v0
	v_add_u32_e32 v5, 0xc00, v198
	v_cvt_f64_f32_e32 v[12:13], v0
	ds_read2_b64 v[0:3], v5 offset0:116 offset1:241
	v_mul_f64 v[12:13], v[12:13], s[0:1]
	v_cvt_f32_f64_e32 v11, v[12:13]
	v_accvgpr_read_b32 v12, a18
	v_accvgpr_read_b32 v13, a19
	s_waitcnt lgkmcnt(0)
	v_mul_f32_e32 v4, v13, v1
	v_fmac_f32_e32 v4, v12, v0
	v_mul_f32_e32 v0, v13, v0
	v_lshl_add_u64 v[8:9], v[8:9], 0, s[6:7]
	v_fma_f32 v0, v12, v1, -v0
	global_store_dwordx2 v[8:9], v[10:11], off
	v_cvt_f64_f32_e32 v[10:11], v4
	v_cvt_f64_f32_e32 v[0:1], v0
	v_accvgpr_read_b32 v12, a20
	v_mul_f64 v[10:11], v[10:11], s[0:1]
	v_mul_f64 v[0:1], v[0:1], s[0:1]
	v_accvgpr_read_b32 v13, a21
	v_cvt_f32_f64_e32 v10, v[10:11]
	v_cvt_f32_f64_e32 v11, v[0:1]
	v_mul_f32_e32 v0, v13, v3
	v_fmac_f32_e32 v0, v12, v2
	v_cvt_f64_f32_e32 v[0:1], v0
	v_lshl_add_u64 v[8:9], v[8:9], 0, s[6:7]
	v_mul_f64 v[0:1], v[0:1], s[0:1]
	global_store_dwordx2 v[8:9], v[10:11], off
	v_cvt_f32_f64_e32 v10, v[0:1]
	v_mul_f32_e32 v0, v13, v2
	v_fma_f32 v0, v12, v3, -v0
	v_add_u32_e32 v4, 0x1400, v198
	v_cvt_f64_f32_e32 v[12:13], v0
	ds_read2_b64 v[0:3], v4 offset0:110 offset1:235
	v_mul_f64 v[12:13], v[12:13], s[0:1]
	v_cvt_f32_f64_e32 v11, v[12:13]
	v_accvgpr_read_b32 v12, a14
	v_accvgpr_read_b32 v13, a15
	s_waitcnt lgkmcnt(0)
	v_mul_f32_e32 v7, v13, v1
	v_fmac_f32_e32 v7, v12, v0
	v_mul_f32_e32 v0, v13, v0
	v_lshl_add_u64 v[8:9], v[8:9], 0, s[6:7]
	v_fma_f32 v0, v12, v1, -v0
	global_store_dwordx2 v[8:9], v[10:11], off
	v_cvt_f64_f32_e32 v[10:11], v7
	v_cvt_f64_f32_e32 v[0:1], v0
	v_mul_f64 v[10:11], v[10:11], s[0:1]
	v_mul_f64 v[0:1], v[0:1], s[0:1]
	v_cvt_f32_f64_e32 v10, v[10:11]
	v_cvt_f32_f64_e32 v11, v[0:1]
	v_lshl_add_u64 v[0:1], v[8:9], 0, s[6:7]
	global_store_dwordx2 v[0:1], v[10:11], off
	v_accvgpr_read_b32 v10, a16
	v_accvgpr_read_b32 v11, a17
	v_mul_f32_e32 v7, v11, v3
	v_fmac_f32_e32 v7, v10, v2
	v_cvt_f64_f32_e32 v[8:9], v7
	v_mul_f32_e32 v2, v11, v2
	v_mul_f64 v[8:9], v[8:9], s[0:1]
	v_fma_f32 v2, v10, v3, -v2
	v_add_u32_e32 v3, 0x1c00, v198
	v_cvt_f32_f64_e32 v12, v[8:9]
	ds_read2_b64 v[8:11], v3 offset0:104 offset1:229
	v_cvt_f64_f32_e32 v[14:15], v2
	v_mul_f64 v[14:15], v[14:15], s[0:1]
	v_cvt_f32_f64_e32 v13, v[14:15]
	v_accvgpr_read_b32 v15, a9
	v_accvgpr_read_b32 v14, a8
	s_waitcnt lgkmcnt(0)
	v_mul_f32_e32 v2, v15, v9
	v_lshl_add_u64 v[0:1], v[0:1], 0, s[6:7]
	v_fmac_f32_e32 v2, v14, v8
	global_store_dwordx2 v[0:1], v[12:13], off
	v_cvt_f64_f32_e32 v[12:13], v2
	v_mul_f32_e32 v2, v15, v8
	v_fma_f32 v2, v14, v9, -v2
	v_accvgpr_read_b32 v15, a11
	v_cvt_f64_f32_e32 v[8:9], v2
	v_accvgpr_read_b32 v14, a10
	v_mul_f32_e32 v2, v15, v11
	v_mul_f64 v[12:13], v[12:13], s[0:1]
	v_mul_f64 v[8:9], v[8:9], s[0:1]
	v_fmac_f32_e32 v2, v14, v10
	v_cvt_f32_f64_e32 v12, v[12:13]
	v_cvt_f32_f64_e32 v13, v[8:9]
	v_cvt_f64_f32_e32 v[8:9], v2
	v_mul_f32_e32 v2, v15, v10
	v_fma_f32 v2, v14, v11, -v2
	v_lshl_add_u64 v[0:1], v[0:1], 0, s[6:7]
	v_mul_f64 v[8:9], v[8:9], s[0:1]
	v_cvt_f64_f32_e32 v[14:15], v2
	v_add_u32_e32 v2, 0x2400, v198
	global_store_dwordx2 v[0:1], v[12:13], off
	v_cvt_f32_f64_e32 v12, v[8:9]
	ds_read2_b64 v[8:11], v2 offset0:98 offset1:223
	v_mul_f64 v[14:15], v[14:15], s[0:1]
	v_cvt_f32_f64_e32 v13, v[14:15]
	v_accvgpr_read_b32 v15, a7
	v_accvgpr_read_b32 v14, a6
	s_waitcnt lgkmcnt(0)
	v_mul_f32_e32 v7, v15, v9
	v_lshl_add_u64 v[0:1], v[0:1], 0, s[6:7]
	v_fmac_f32_e32 v7, v14, v8
	global_store_dwordx2 v[0:1], v[12:13], off
	v_cvt_f64_f32_e32 v[12:13], v7
	v_mul_f32_e32 v7, v15, v8
	v_fma_f32 v7, v14, v9, -v7
	v_cvt_f64_f32_e32 v[8:9], v7
	v_mul_f64 v[12:13], v[12:13], s[0:1]
	v_mul_f64 v[8:9], v[8:9], s[0:1]
	v_cvt_f32_f64_e32 v12, v[12:13]
	v_cvt_f32_f64_e32 v13, v[8:9]
	v_lshl_add_u64 v[0:1], v[0:1], 0, s[6:7]
	global_store_dwordx2 v[0:1], v[12:13], off
	v_accvgpr_read_b32 v13, a5
	v_accvgpr_read_b32 v12, a4
	v_mul_f32_e32 v7, v13, v11
	v_fmac_f32_e32 v7, v12, v10
	v_cvt_f64_f32_e32 v[8:9], v7
	v_mul_f32_e32 v7, v13, v10
	v_fma_f32 v7, v12, v11, -v7
	ds_read_b64 v[12:13], v198 offset:12000
	v_cvt_f64_f32_e32 v[10:11], v7
	v_mul_f64 v[8:9], v[8:9], s[0:1]
	v_mul_f64 v[10:11], v[10:11], s[0:1]
	v_cvt_f32_f64_e32 v8, v[8:9]
	v_cvt_f32_f64_e32 v9, v[10:11]
	v_accvgpr_read_b32 v11, a3
	v_accvgpr_read_b32 v10, a2
	s_waitcnt lgkmcnt(0)
	v_mul_f32_e32 v7, v11, v13
	v_lshl_add_u64 v[0:1], v[0:1], 0, s[6:7]
	v_fmac_f32_e32 v7, v10, v12
	global_store_dwordx2 v[0:1], v[8:9], off
	v_cvt_f64_f32_e32 v[8:9], v7
	v_mul_f32_e32 v7, v11, v12
	v_fma_f32 v7, v10, v13, -v7
	v_cvt_f64_f32_e32 v[10:11], v7
	v_mul_f64 v[8:9], v[8:9], s[0:1]
	v_mul_f64 v[10:11], v[10:11], s[0:1]
	s_movk_i32 s8, 0x2000
	v_cvt_f32_f64_e32 v8, v[8:9]
	v_cvt_f32_f64_e32 v9, v[10:11]
	v_lshl_add_u64 v[0:1], v[0:1], 0, s[6:7]
	global_store_dwordx2 v[0:1], v[8:9], off
	s_and_b64 exec, exec, s[2:3]
	s_cbranch_execz .LBB0_15
; %bb.14:
	v_accvgpr_read_b32 v15, a1
	v_accvgpr_read_b32 v14, a0
	global_load_dwordx2 v[8:9], v[14:15], off offset:520
	ds_read_b64 v[10:11], v25 offset:520
	v_mov_b32_e32 v7, 0xffffd328
	v_mad_u64_u32 v[0:1], s[2:3], s4, v7, v[0:1]
	s_mulk_i32 s5, 0xd328
	s_sub_i32 s2, s5, s4
	v_add_u32_e32 v1, s2, v1
	s_movk_i32 s2, 0x3000
	s_waitcnt vmcnt(0) lgkmcnt(0)
	v_mul_f32_e32 v7, v11, v9
	v_mul_f32_e32 v9, v10, v9
	v_fmac_f32_e32 v7, v10, v8
	v_fma_f32 v10, v8, v11, -v9
	v_cvt_f64_f32_e32 v[8:9], v7
	v_cvt_f64_f32_e32 v[10:11], v10
	v_mul_f64 v[8:9], v[8:9], s[0:1]
	v_mul_f64 v[10:11], v[10:11], s[0:1]
	v_cvt_f32_f64_e32 v8, v[8:9]
	v_cvt_f32_f64_e32 v9, v[10:11]
	global_store_dwordx2 v[0:1], v[8:9], off
	global_load_dwordx2 v[10:11], v[14:15], off offset:1520
	ds_read2_b64 v[6:9], v6 offset0:62 offset1:187
	v_lshl_add_u64 v[0:1], v[0:1], 0, s[6:7]
	s_waitcnt vmcnt(0) lgkmcnt(0)
	v_mul_f32_e32 v12, v7, v11
	v_mul_f32_e32 v11, v6, v11
	v_fmac_f32_e32 v12, v6, v10
	v_fma_f32 v10, v10, v7, -v11
	v_cvt_f64_f32_e32 v[6:7], v12
	v_cvt_f64_f32_e32 v[10:11], v10
	v_mul_f64 v[6:7], v[6:7], s[0:1]
	v_mul_f64 v[10:11], v[10:11], s[0:1]
	v_cvt_f32_f64_e32 v6, v[6:7]
	v_cvt_f32_f64_e32 v7, v[10:11]
	global_store_dwordx2 v[0:1], v[6:7], off
	global_load_dwordx2 v[6:7], v[14:15], off offset:2520
	v_lshl_add_u64 v[0:1], v[0:1], 0, s[6:7]
	v_add_co_u32_e32 v12, vcc, s9, v14
	s_waitcnt vmcnt(0)
	v_mul_f32_e32 v10, v9, v7
	v_mul_f32_e32 v7, v8, v7
	v_fmac_f32_e32 v10, v8, v6
	v_fma_f32 v8, v6, v9, -v7
	v_cvt_f64_f32_e32 v[6:7], v10
	v_cvt_f64_f32_e32 v[8:9], v8
	v_mul_f64 v[6:7], v[6:7], s[0:1]
	v_mul_f64 v[8:9], v[8:9], s[0:1]
	v_cvt_f32_f64_e32 v6, v[6:7]
	v_cvt_f32_f64_e32 v7, v[8:9]
	global_store_dwordx2 v[0:1], v[6:7], off
	global_load_dwordx2 v[10:11], v[14:15], off offset:3520
	ds_read2_b64 v[6:9], v5 offset0:56 offset1:181
	v_lshl_add_u64 v[0:1], v[0:1], 0, s[6:7]
	v_addc_co_u32_e32 v13, vcc, 0, v15, vcc
	s_waitcnt vmcnt(0) lgkmcnt(0)
	v_mul_f32_e32 v5, v7, v11
	v_mul_f32_e32 v11, v6, v11
	v_fmac_f32_e32 v5, v6, v10
	v_fma_f32 v10, v10, v7, -v11
	v_cvt_f64_f32_e32 v[6:7], v5
	v_cvt_f64_f32_e32 v[10:11], v10
	v_mul_f64 v[6:7], v[6:7], s[0:1]
	v_mul_f64 v[10:11], v[10:11], s[0:1]
	v_cvt_f32_f64_e32 v6, v[6:7]
	v_cvt_f32_f64_e32 v7, v[10:11]
	global_store_dwordx2 v[0:1], v[6:7], off
	global_load_dwordx2 v[6:7], v[12:13], off offset:424
	v_lshl_add_u64 v[0:1], v[0:1], 0, s[6:7]
	s_waitcnt vmcnt(0)
	v_mul_f32_e32 v5, v9, v7
	v_mul_f32_e32 v7, v8, v7
	v_fmac_f32_e32 v5, v8, v6
	v_fma_f32 v8, v6, v9, -v7
	v_cvt_f64_f32_e32 v[6:7], v5
	v_cvt_f64_f32_e32 v[8:9], v8
	v_mul_f64 v[6:7], v[6:7], s[0:1]
	v_mul_f64 v[8:9], v[8:9], s[0:1]
	v_cvt_f32_f64_e32 v6, v[6:7]
	v_cvt_f32_f64_e32 v7, v[8:9]
	global_store_dwordx2 v[0:1], v[6:7], off
	global_load_dwordx2 v[8:9], v[12:13], off offset:1424
	ds_read2_b64 v[4:7], v4 offset0:50 offset1:175
	v_lshl_add_u64 v[0:1], v[0:1], 0, s[6:7]
	s_waitcnt vmcnt(0) lgkmcnt(0)
	v_mul_f32_e32 v10, v5, v9
	v_mul_f32_e32 v9, v4, v9
	v_fmac_f32_e32 v10, v4, v8
	v_fma_f32 v8, v8, v5, -v9
	v_cvt_f64_f32_e32 v[4:5], v10
	v_cvt_f64_f32_e32 v[8:9], v8
	v_mul_f64 v[4:5], v[4:5], s[0:1]
	v_mul_f64 v[8:9], v[8:9], s[0:1]
	v_cvt_f32_f64_e32 v4, v[4:5]
	v_cvt_f32_f64_e32 v5, v[8:9]
	global_store_dwordx2 v[0:1], v[4:5], off
	global_load_dwordx2 v[4:5], v[12:13], off offset:2424
	v_lshl_add_u64 v[0:1], v[0:1], 0, s[6:7]
	v_add_co_u32_e32 v10, vcc, s8, v14
	s_waitcnt vmcnt(0)
	v_mul_f32_e32 v8, v7, v5
	v_mul_f32_e32 v5, v6, v5
	v_fmac_f32_e32 v8, v6, v4
	v_fma_f32 v6, v4, v7, -v5
	v_cvt_f64_f32_e32 v[4:5], v8
	v_cvt_f64_f32_e32 v[6:7], v6
	v_mul_f64 v[4:5], v[4:5], s[0:1]
	v_mul_f64 v[6:7], v[6:7], s[0:1]
	v_cvt_f32_f64_e32 v4, v[4:5]
	v_cvt_f32_f64_e32 v5, v[6:7]
	global_store_dwordx2 v[0:1], v[4:5], off
	global_load_dwordx2 v[8:9], v[12:13], off offset:3424
	ds_read2_b64 v[4:7], v3 offset0:44 offset1:169
	v_lshl_add_u64 v[0:1], v[0:1], 0, s[6:7]
	v_addc_co_u32_e32 v11, vcc, 0, v15, vcc
	s_waitcnt vmcnt(0) lgkmcnt(0)
	v_mul_f32_e32 v3, v5, v9
	v_mul_f32_e32 v9, v4, v9
	v_fmac_f32_e32 v3, v4, v8
	v_fma_f32 v8, v8, v5, -v9
	v_cvt_f64_f32_e32 v[4:5], v3
	v_cvt_f64_f32_e32 v[8:9], v8
	v_mul_f64 v[4:5], v[4:5], s[0:1]
	v_mul_f64 v[8:9], v[8:9], s[0:1]
	v_cvt_f32_f64_e32 v4, v[4:5]
	v_cvt_f32_f64_e32 v5, v[8:9]
	global_store_dwordx2 v[0:1], v[4:5], off
	global_load_dwordx2 v[4:5], v[10:11], off offset:328
	v_lshl_add_u64 v[8:9], v[0:1], 0, s[6:7]
	s_waitcnt vmcnt(0)
	v_mul_f32_e32 v0, v7, v5
	v_mul_f32_e32 v1, v6, v5
	v_fmac_f32_e32 v0, v6, v4
	v_fma_f32 v3, v4, v7, -v1
	v_cvt_f64_f32_e32 v[0:1], v0
	v_cvt_f64_f32_e32 v[4:5], v3
	v_mul_f64 v[0:1], v[0:1], s[0:1]
	v_mul_f64 v[4:5], v[4:5], s[0:1]
	v_cvt_f32_f64_e32 v0, v[0:1]
	v_cvt_f32_f64_e32 v1, v[4:5]
	global_store_dwordx2 v[8:9], v[0:1], off
	global_load_dwordx2 v[4:5], v[10:11], off offset:1328
	ds_read2_b64 v[0:3], v2 offset0:38 offset1:163
	v_lshl_add_u64 v[6:7], v[8:9], 0, s[6:7]
	s_waitcnt vmcnt(0) lgkmcnt(0)
	v_mul_f32_e32 v8, v1, v5
	v_mul_f32_e32 v5, v0, v5
	v_fmac_f32_e32 v8, v0, v4
	v_fma_f32 v4, v4, v1, -v5
	v_cvt_f64_f32_e32 v[0:1], v8
	v_cvt_f64_f32_e32 v[4:5], v4
	v_mul_f64 v[0:1], v[0:1], s[0:1]
	v_mul_f64 v[4:5], v[4:5], s[0:1]
	v_cvt_f32_f64_e32 v0, v[0:1]
	v_cvt_f32_f64_e32 v1, v[4:5]
	global_store_dwordx2 v[6:7], v[0:1], off
	global_load_dwordx2 v[0:1], v[10:11], off offset:2328
	v_lshl_add_u64 v[4:5], v[6:7], 0, s[6:7]
	v_add_co_u32_e32 v8, vcc, s2, v14
	s_waitcnt vmcnt(0)
	v_mul_f32_e32 v6, v3, v1
	v_mul_f32_e32 v1, v2, v1
	v_fmac_f32_e32 v6, v2, v0
	v_fma_f32 v2, v0, v3, -v1
	v_cvt_f64_f32_e32 v[0:1], v6
	v_cvt_f64_f32_e32 v[2:3], v2
	v_mul_f64 v[0:1], v[0:1], s[0:1]
	v_mul_f64 v[2:3], v[2:3], s[0:1]
	v_cvt_f32_f64_e32 v0, v[0:1]
	v_cvt_f32_f64_e32 v1, v[2:3]
	global_store_dwordx2 v[4:5], v[0:1], off
	global_load_dwordx2 v[6:7], v[10:11], off offset:3328
	v_add_u32_e32 v0, 0x2c00, v198
	ds_read2_b64 v[0:3], v0 offset0:32 offset1:157
	v_lshl_add_u64 v[4:5], v[4:5], 0, s[6:7]
	v_addc_co_u32_e32 v9, vcc, 0, v15, vcc
	s_waitcnt vmcnt(0) lgkmcnt(0)
	v_mul_f32_e32 v10, v1, v7
	v_mul_f32_e32 v7, v0, v7
	v_fmac_f32_e32 v10, v0, v6
	v_fma_f32 v6, v6, v1, -v7
	v_cvt_f64_f32_e32 v[0:1], v10
	v_cvt_f64_f32_e32 v[6:7], v6
	v_mul_f64 v[0:1], v[0:1], s[0:1]
	v_mul_f64 v[6:7], v[6:7], s[0:1]
	v_cvt_f32_f64_e32 v0, v[0:1]
	v_cvt_f32_f64_e32 v1, v[6:7]
	global_store_dwordx2 v[4:5], v[0:1], off
	global_load_dwordx2 v[0:1], v[8:9], off offset:232
	s_waitcnt vmcnt(0)
	v_mul_f32_e32 v6, v3, v1
	v_mul_f32_e32 v1, v2, v1
	v_fmac_f32_e32 v6, v2, v0
	v_fma_f32 v2, v0, v3, -v1
	v_cvt_f64_f32_e32 v[0:1], v6
	v_cvt_f64_f32_e32 v[2:3], v2
	v_mul_f64 v[0:1], v[0:1], s[0:1]
	v_mul_f64 v[2:3], v[2:3], s[0:1]
	v_cvt_f32_f64_e32 v0, v[0:1]
	v_cvt_f32_f64_e32 v1, v[2:3]
	v_lshl_add_u64 v[2:3], v[4:5], 0, s[6:7]
	global_store_dwordx2 v[2:3], v[0:1], off
.LBB0_15:
	s_endpgm
	.section	.rodata,"a",@progbits
	.p2align	6, 0x0
	.amdhsa_kernel bluestein_single_back_len1625_dim1_sp_op_CI_CI
		.amdhsa_group_segment_fixed_size 26000
		.amdhsa_private_segment_fixed_size 0
		.amdhsa_kernarg_size 104
		.amdhsa_user_sgpr_count 2
		.amdhsa_user_sgpr_dispatch_ptr 0
		.amdhsa_user_sgpr_queue_ptr 0
		.amdhsa_user_sgpr_kernarg_segment_ptr 1
		.amdhsa_user_sgpr_dispatch_id 0
		.amdhsa_user_sgpr_kernarg_preload_length 0
		.amdhsa_user_sgpr_kernarg_preload_offset 0
		.amdhsa_user_sgpr_private_segment_size 0
		.amdhsa_uses_dynamic_stack 0
		.amdhsa_enable_private_segment 0
		.amdhsa_system_sgpr_workgroup_id_x 1
		.amdhsa_system_sgpr_workgroup_id_y 0
		.amdhsa_system_sgpr_workgroup_id_z 0
		.amdhsa_system_sgpr_workgroup_info 0
		.amdhsa_system_vgpr_workitem_id 0
		.amdhsa_next_free_vgpr 392
		.amdhsa_next_free_sgpr 56
		.amdhsa_accum_offset 256
		.amdhsa_reserve_vcc 1
		.amdhsa_float_round_mode_32 0
		.amdhsa_float_round_mode_16_64 0
		.amdhsa_float_denorm_mode_32 3
		.amdhsa_float_denorm_mode_16_64 3
		.amdhsa_dx10_clamp 1
		.amdhsa_ieee_mode 1
		.amdhsa_fp16_overflow 0
		.amdhsa_tg_split 0
		.amdhsa_exception_fp_ieee_invalid_op 0
		.amdhsa_exception_fp_denorm_src 0
		.amdhsa_exception_fp_ieee_div_zero 0
		.amdhsa_exception_fp_ieee_overflow 0
		.amdhsa_exception_fp_ieee_underflow 0
		.amdhsa_exception_fp_ieee_inexact 0
		.amdhsa_exception_int_div_zero 0
	.end_amdhsa_kernel
	.text
.Lfunc_end0:
	.size	bluestein_single_back_len1625_dim1_sp_op_CI_CI, .Lfunc_end0-bluestein_single_back_len1625_dim1_sp_op_CI_CI
                                        ; -- End function
	.section	.AMDGPU.csdata,"",@progbits
; Kernel info:
; codeLenInByte = 32592
; NumSgprs: 62
; NumVgprs: 256
; NumAgprs: 136
; TotalNumVgprs: 392
; ScratchSize: 0
; MemoryBound: 0
; FloatMode: 240
; IeeeMode: 1
; LDSByteSize: 26000 bytes/workgroup (compile time only)
; SGPRBlocks: 7
; VGPRBlocks: 48
; NumSGPRsForWavesPerEU: 62
; NumVGPRsForWavesPerEU: 392
; AccumOffset: 256
; Occupancy: 1
; WaveLimiterHint : 1
; COMPUTE_PGM_RSRC2:SCRATCH_EN: 0
; COMPUTE_PGM_RSRC2:USER_SGPR: 2
; COMPUTE_PGM_RSRC2:TRAP_HANDLER: 0
; COMPUTE_PGM_RSRC2:TGID_X_EN: 1
; COMPUTE_PGM_RSRC2:TGID_Y_EN: 0
; COMPUTE_PGM_RSRC2:TGID_Z_EN: 0
; COMPUTE_PGM_RSRC2:TIDIG_COMP_CNT: 0
; COMPUTE_PGM_RSRC3_GFX90A:ACCUM_OFFSET: 63
; COMPUTE_PGM_RSRC3_GFX90A:TG_SPLIT: 0
	.text
	.p2alignl 6, 3212836864
	.fill 256, 4, 3212836864
	.type	__hip_cuid_e5efad4498bb754d,@object ; @__hip_cuid_e5efad4498bb754d
	.section	.bss,"aw",@nobits
	.globl	__hip_cuid_e5efad4498bb754d
__hip_cuid_e5efad4498bb754d:
	.byte	0                               ; 0x0
	.size	__hip_cuid_e5efad4498bb754d, 1

	.ident	"AMD clang version 19.0.0git (https://github.com/RadeonOpenCompute/llvm-project roc-6.4.0 25133 c7fe45cf4b819c5991fe208aaa96edf142730f1d)"
	.section	".note.GNU-stack","",@progbits
	.addrsig
	.addrsig_sym __hip_cuid_e5efad4498bb754d
	.amdgpu_metadata
---
amdhsa.kernels:
  - .agpr_count:     136
    .args:
      - .actual_access:  read_only
        .address_space:  global
        .offset:         0
        .size:           8
        .value_kind:     global_buffer
      - .actual_access:  read_only
        .address_space:  global
        .offset:         8
        .size:           8
        .value_kind:     global_buffer
      - .actual_access:  read_only
        .address_space:  global
        .offset:         16
        .size:           8
        .value_kind:     global_buffer
      - .actual_access:  read_only
        .address_space:  global
        .offset:         24
        .size:           8
        .value_kind:     global_buffer
      - .actual_access:  read_only
        .address_space:  global
        .offset:         32
        .size:           8
        .value_kind:     global_buffer
      - .offset:         40
        .size:           8
        .value_kind:     by_value
      - .address_space:  global
        .offset:         48
        .size:           8
        .value_kind:     global_buffer
      - .address_space:  global
        .offset:         56
        .size:           8
        .value_kind:     global_buffer
      - .address_space:  global
        .offset:         64
        .size:           8
        .value_kind:     global_buffer
      - .address_space:  global
        .offset:         72
        .size:           8
        .value_kind:     global_buffer
      - .offset:         80
        .size:           4
        .value_kind:     by_value
      - .address_space:  global
        .offset:         88
        .size:           8
        .value_kind:     global_buffer
      - .address_space:  global
        .offset:         96
        .size:           8
        .value_kind:     global_buffer
    .group_segment_fixed_size: 26000
    .kernarg_segment_align: 8
    .kernarg_segment_size: 104
    .language:       OpenCL C
    .language_version:
      - 2
      - 0
    .max_flat_workgroup_size: 130
    .name:           bluestein_single_back_len1625_dim1_sp_op_CI_CI
    .private_segment_fixed_size: 0
    .sgpr_count:     62
    .sgpr_spill_count: 0
    .symbol:         bluestein_single_back_len1625_dim1_sp_op_CI_CI.kd
    .uniform_work_group_size: 1
    .uses_dynamic_stack: false
    .vgpr_count:     392
    .vgpr_spill_count: 0
    .wavefront_size: 64
amdhsa.target:   amdgcn-amd-amdhsa--gfx950
amdhsa.version:
  - 1
  - 2
...

	.end_amdgpu_metadata
